;; amdgpu-corpus repo=ROCm/rocFFT kind=compiled arch=gfx1030 opt=O3
	.text
	.amdgcn_target "amdgcn-amd-amdhsa--gfx1030"
	.amdhsa_code_object_version 6
	.protected	bluestein_single_back_len338_dim1_sp_op_CI_CI ; -- Begin function bluestein_single_back_len338_dim1_sp_op_CI_CI
	.globl	bluestein_single_back_len338_dim1_sp_op_CI_CI
	.p2align	8
	.type	bluestein_single_back_len338_dim1_sp_op_CI_CI,@function
bluestein_single_back_len338_dim1_sp_op_CI_CI: ; @bluestein_single_back_len338_dim1_sp_op_CI_CI
; %bb.0:
	s_load_dwordx4 s[12:15], s[4:5], 0x28
	v_mul_u32_u24_e32 v1, 0x9d9, v0
	v_mov_b32_e32 v67, 0
	s_mov_b32 s0, exec_lo
	v_lshrrev_b32_e32 v1, 16, v1
	v_lshl_add_u32 v66, s6, 1, v1
	s_waitcnt lgkmcnt(0)
	v_cmpx_gt_u64_e64 s[12:13], v[66:67]
	s_cbranch_execz .LBB0_10
; %bb.1:
	s_clause 0x1
	s_load_dwordx4 s[8:11], s[4:5], 0x18
	s_load_dwordx4 s[0:3], s[4:5], 0x0
	v_mul_lo_u16 v2, v1, 26
	s_load_dwordx2 s[4:5], s[4:5], 0x38
	v_sub_nc_u16 v28, v0, v2
	v_and_b32_e32 v94, 0xffff, v28
	v_lshlrev_b32_e32 v31, 3, v94
	s_waitcnt lgkmcnt(0)
	s_load_dwordx4 s[16:19], s[8:9], 0x0
	s_clause 0x3
	global_load_dwordx2 v[77:78], v31, s[0:1]
	global_load_dwordx2 v[73:74], v31, s[0:1] offset:208
	global_load_dwordx2 v[75:76], v31, s[0:1] offset:416
	global_load_dwordx2 v[69:70], v31, s[0:1] offset:624
	v_add_co_u32 v34, s6, s0, v31
	v_add_co_ci_u32_e64 v35, null, s1, 0, s6
	s_clause 0x5
	global_load_dwordx2 v[71:72], v31, s[0:1] offset:832
	global_load_dwordx2 v[64:65], v31, s[0:1] offset:1040
	;; [unrolled: 1-line block ×6, first 2 shown]
	s_waitcnt lgkmcnt(0)
	v_mad_u64_u32 v[2:3], null, s18, v66, 0
	v_mad_u64_u32 v[4:5], null, s16, v94, 0
	s_mul_i32 s0, s17, 0xd0
	s_mul_hi_u32 s1, s16, 0xd0
	s_mul_i32 s6, s16, 0xd0
	s_add_i32 s1, s1, s0
	v_mov_b32_e32 v0, v3
	v_mov_b32_e32 v3, v5
	v_mad_u64_u32 v[5:6], null, s19, v66, v[0:1]
	v_mad_u64_u32 v[6:7], null, s17, v94, v[3:4]
	v_mov_b32_e32 v3, v5
	v_mov_b32_e32 v5, v6
	v_lshlrev_b64 v[2:3], 3, v[2:3]
	v_lshlrev_b64 v[4:5], 3, v[4:5]
	v_add_co_u32 v0, vcc_lo, s14, v2
	v_add_co_ci_u32_e32 v3, vcc_lo, s15, v3, vcc_lo
	v_add_co_u32 v2, vcc_lo, v0, v4
	v_add_co_ci_u32_e32 v3, vcc_lo, v3, v5, vcc_lo
	v_and_b32_e32 v0, 1, v1
	v_add_co_u32 v4, vcc_lo, v2, s6
	v_add_co_ci_u32_e32 v5, vcc_lo, s1, v3, vcc_lo
	v_add_co_u32 v32, vcc_lo, 0x800, v34
	v_add_co_ci_u32_e32 v33, vcc_lo, 0, v35, vcc_lo
	;; [unrolled: 2-line block ×3, first 2 shown]
	s_clause 0x1
	global_load_dwordx2 v[2:3], v[2:3], off
	global_load_dwordx2 v[4:5], v[4:5], off
	v_add_co_u32 v8, vcc_lo, v6, s6
	v_add_co_ci_u32_e32 v9, vcc_lo, s1, v7, vcc_lo
	global_load_dwordx2 v[56:57], v[32:33], off offset:32
	v_add_co_u32 v10, vcc_lo, v8, s6
	v_add_co_ci_u32_e32 v11, vcc_lo, s1, v9, vcc_lo
	v_add_co_u32 v12, vcc_lo, v10, s6
	v_add_co_ci_u32_e32 v13, vcc_lo, s1, v11, vcc_lo
	s_clause 0x2
	global_load_dwordx2 v[6:7], v[6:7], off
	global_load_dwordx2 v[8:9], v[8:9], off
	;; [unrolled: 1-line block ×3, first 2 shown]
	v_add_co_u32 v14, vcc_lo, v12, s6
	v_add_co_ci_u32_e32 v15, vcc_lo, s1, v13, vcc_lo
	global_load_dwordx2 v[12:13], v[12:13], off
	v_add_co_u32 v16, vcc_lo, v14, s6
	v_add_co_ci_u32_e32 v17, vcc_lo, s1, v15, vcc_lo
	global_load_dwordx2 v[14:15], v[14:15], off
	;; [unrolled: 3-line block ×7, first 2 shown]
	s_clause 0x1
	global_load_dwordx2 v[60:61], v[32:33], off offset:240
	global_load_dwordx2 v[62:63], v[32:33], off offset:448
	global_load_dwordx2 v[25:26], v[26:27], off
	v_cmp_eq_u32_e32 vcc_lo, 1, v0
	s_load_dwordx4 s[8:11], s[10:11], 0x0
	v_cndmask_b32_e64 v95, 0, 0xa90, vcc_lo
	v_cmp_gt_u16_e32 vcc_lo, 13, v28
	v_add_nc_u32_e32 v93, v95, v31
	v_add_nc_u32_e32 v24, 0x800, v93
	s_waitcnt vmcnt(15)
	v_mul_f32_e32 v0, v3, v78
	v_mul_f32_e32 v1, v2, v78
	s_waitcnt vmcnt(14)
	v_mul_f32_e32 v36, v5, v74
	v_fmac_f32_e32 v0, v2, v77
	v_fma_f32 v1, v3, v77, -v1
	v_mul_f32_e32 v3, v4, v74
	v_fmac_f32_e32 v36, v4, v73
	v_fma_f32 v37, v5, v73, -v3
	s_waitcnt vmcnt(12)
	v_mul_f32_e32 v2, v7, v76
	v_mul_f32_e32 v27, v6, v76
	s_waitcnt vmcnt(11)
	v_mul_f32_e32 v4, v9, v70
	v_mul_f32_e32 v31, v8, v70
	ds_write2_b64 v93, v[0:1], v[36:37] offset1:26
	v_fmac_f32_e32 v2, v6, v75
	v_fma_f32 v3, v7, v75, -v27
	v_fmac_f32_e32 v4, v8, v69
	v_fma_f32 v5, v9, v69, -v31
	s_waitcnt vmcnt(10)
	v_mul_f32_e32 v6, v11, v72
	v_mul_f32_e32 v7, v10, v72
	s_waitcnt vmcnt(9)
	v_mul_f32_e32 v0, v13, v65
	v_mul_f32_e32 v1, v12, v65
	ds_write2_b64 v93, v[2:3], v[4:5] offset0:52 offset1:78
	s_waitcnt vmcnt(8)
	v_mul_f32_e32 v2, v15, v68
	v_mul_f32_e32 v3, v14, v68
	v_fmac_f32_e32 v6, v10, v71
	s_waitcnt vmcnt(7)
	v_mul_f32_e32 v4, v17, v59
	v_mul_f32_e32 v5, v16, v59
	v_fma_f32 v7, v11, v71, -v7
	v_fmac_f32_e32 v0, v12, v64
	v_fma_f32 v1, v13, v64, -v1
	s_waitcnt vmcnt(6)
	v_mul_f32_e32 v8, v19, v53
	v_mul_f32_e32 v9, v18, v53
	v_fmac_f32_e32 v2, v14, v67
	v_fma_f32 v3, v15, v67, -v3
	v_fmac_f32_e32 v4, v16, v58
	s_waitcnt vmcnt(5)
	v_mul_f32_e32 v10, v21, v55
	v_mul_f32_e32 v11, v20, v55
	v_fma_f32 v5, v17, v58, -v5
	v_fmac_f32_e32 v8, v18, v52
	v_fma_f32 v9, v19, v52, -v9
	s_waitcnt vmcnt(4)
	v_mul_f32_e32 v12, v23, v57
	v_mul_f32_e32 v13, v22, v57
	v_fmac_f32_e32 v10, v20, v54
	s_waitcnt vmcnt(2)
	v_mul_f32_e32 v14, v30, v61
	v_mul_f32_e32 v15, v29, v61
	s_waitcnt vmcnt(0)
	v_mul_f32_e32 v16, v26, v63
	v_mul_f32_e32 v17, v25, v63
	v_fma_f32 v11, v21, v54, -v11
	v_fmac_f32_e32 v12, v22, v56
	v_fma_f32 v13, v23, v56, -v13
	v_fmac_f32_e32 v14, v29, v60
	;; [unrolled: 2-line block ×3, first 2 shown]
	v_fma_f32 v17, v26, v62, -v17
	ds_write2_b64 v93, v[6:7], v[0:1] offset0:104 offset1:130
	ds_write2_b64 v93, v[2:3], v[4:5] offset0:156 offset1:182
	ds_write2_b64 v93, v[8:9], v[10:11] offset0:208 offset1:234
	ds_write2_b64 v24, v[12:13], v[14:15] offset0:4 offset1:30
	ds_write_b64 v93, v[16:17] offset:2496
	s_waitcnt lgkmcnt(0)
	s_barrier
	buffer_gl0_inv
	ds_read2_b64 v[0:3], v93 offset1:26
	ds_read_b64 v[20:21], v93 offset:2496
	ds_read2_b64 v[4:7], v93 offset0:104 offset1:130
	ds_read2_b64 v[8:11], v93 offset0:208 offset1:234
	ds_read2_b64 v[16:19], v93 offset0:52 offset1:78
	ds_read2_b64 v[12:15], v24 offset0:4 offset1:30
	ds_read2_b64 v[36:39], v93 offset0:156 offset1:182
	s_waitcnt lgkmcnt(0)
	s_barrier
	buffer_gl0_inv
	v_sub_f32_e32 v22, v3, v21
	v_add_f32_e32 v26, v21, v3
	v_add_f32_e32 v3, v1, v3
	v_sub_f32_e32 v23, v2, v20
	v_add_f32_e32 v25, v20, v2
	v_add_f32_e32 v2, v0, v2
	v_sub_f32_e32 v47, v17, v15
	v_add_f32_e32 v3, v3, v17
	v_mul_f32_e32 v83, 0xbeedf032, v22
	v_add_f32_e32 v44, v14, v16
	v_add_f32_e32 v2, v2, v16
	v_sub_f32_e32 v46, v16, v14
	v_add_f32_e32 v3, v3, v19
	v_sub_f32_e32 v51, v19, v13
	v_mul_f32_e32 v84, 0xbeedf032, v23
	v_mul_f32_e32 v85, 0xbf52af12, v22
	;; [unrolled: 1-line block ×8, first 2 shown]
	v_fma_f32 v138, 0x3f62ad3f, v25, -v83
	v_fmac_f32_e32 v83, 0x3f62ad3f, v25
	v_add_f32_e32 v2, v2, v18
	v_add_f32_e32 v3, v3, v5
	v_sub_f32_e32 v31, v5, v11
	v_add_f32_e32 v45, v15, v17
	v_add_f32_e32 v48, v12, v18
	v_sub_f32_e32 v50, v18, v12
	v_mul_f32_e32 v88, 0xbf7e222b, v23
	v_mul_f32_e32 v90, 0xbf6f5d39, v23
	;; [unrolled: 1-line block ×16, first 2 shown]
	v_fmamk_f32 v139, v26, 0x3f62ad3f, v84
	v_fma_f32 v84, 0x3f62ad3f, v26, -v84
	v_fma_f32 v140, 0x3f116cb1, v25, -v85
	v_fmamk_f32 v141, v26, 0x3f116cb1, v86
	v_fmac_f32_e32 v85, 0x3f116cb1, v25
	v_fma_f32 v142, 0x3df6dbef, v25, -v87
	v_fmac_f32_e32 v87, 0x3df6dbef, v25
	v_fma_f32 v144, 0xbeb58ec6, v25, -v89
	;; [unrolled: 2-line block ×5, first 2 shown]
	v_fmac_f32_e32 v16, 0x3f116cb1, v44
	v_add_f32_e32 v83, v0, v83
	v_add_f32_e32 v2, v2, v4
	;; [unrolled: 1-line block ×4, first 2 shown]
	v_sub_f32_e32 v30, v4, v10
	v_add_f32_e32 v41, v9, v7
	v_sub_f32_e32 v43, v7, v9
	v_add_f32_e32 v49, v13, v19
	v_mul_f32_e32 v105, 0xbe750f2a, v51
	v_mul_f32_e32 v106, 0x3f6f5d39, v51
	;; [unrolled: 1-line block ×12, first 2 shown]
	v_fma_f32 v86, 0x3f116cb1, v26, -v86
	v_fmamk_f32 v143, v26, 0x3df6dbef, v88
	v_fma_f32 v88, 0x3df6dbef, v26, -v88
	v_fmamk_f32 v145, v26, 0xbeb58ec6, v90
	;; [unrolled: 2-line block ×4, first 2 shown]
	v_fma_f32 v23, 0xbf788fa5, v26, -v23
	v_fma_f32 v19, 0xbeb58ec6, v44, -v17
	v_fmac_f32_e32 v17, 0xbeb58ec6, v44
	v_fma_f32 v26, 0xbf788fa5, v44, -v96
	v_fmac_f32_e32 v96, 0xbf788fa5, v44
	;; [unrolled: 2-line block ×5, first 2 shown]
	v_fmamk_f32 v44, v45, 0x3f116cb1, v99
	v_fma_f32 v99, 0x3f116cb1, v45, -v99
	v_fmamk_f32 v152, v45, 0xbeb58ec6, v100
	v_fma_f32 v100, 0xbeb58ec6, v45, -v100
	v_fmamk_f32 v153, v45, 0xbf788fa5, v101
	v_fma_f32 v101, 0xbf788fa5, v45, -v101
	v_fmamk_f32 v154, v45, 0xbf3f9e67, v102
	v_fma_f32 v102, 0xbf3f9e67, v45, -v102
	v_fmamk_f32 v155, v45, 0x3df6dbef, v103
	v_fma_f32 v103, 0x3df6dbef, v45, -v103
	v_fmamk_f32 v156, v45, 0x3f62ad3f, v46
	v_fma_f32 v45, 0x3f62ad3f, v45, -v46
	v_fma_f32 v46, 0x3df6dbef, v48, -v104
	v_fmac_f32_e32 v104, 0x3df6dbef, v48
	v_add_f32_e32 v138, v0, v138
	v_add_f32_e32 v84, v1, v84
	;; [unrolled: 1-line block ×18, first 2 shown]
	v_sub_f32_e32 v42, v6, v8
	v_sub_f32_e32 v82, v37, v39
	v_mul_f32_e32 v115, 0x3f29c268, v31
	v_mul_f32_e32 v116, 0x3eedf032, v31
	;; [unrolled: 1-line block ×12, first 2 shown]
	v_fma_f32 v157, 0xbf788fa5, v48, -v105
	v_fmac_f32_e32 v105, 0xbf788fa5, v48
	v_fma_f32 v158, 0xbeb58ec6, v48, -v106
	v_fmac_f32_e32 v106, 0xbeb58ec6, v48
	;; [unrolled: 2-line block ×5, first 2 shown]
	v_fmamk_f32 v48, v49, 0x3df6dbef, v109
	v_fma_f32 v109, 0x3df6dbef, v49, -v109
	v_fmamk_f32 v162, v49, 0xbf788fa5, v110
	v_fma_f32 v110, 0xbf788fa5, v49, -v110
	;; [unrolled: 2-line block ×6, first 2 shown]
	v_fma_f32 v50, 0xbeb58ec6, v27, -v114
	v_fmac_f32_e32 v114, 0xbeb58ec6, v27
	v_add_f32_e32 v139, v1, v139
	v_add_f32_e32 v5, v18, v138
	;; [unrolled: 1-line block ×10, first 2 shown]
	v_sub_f32_e32 v81, v36, v38
	v_mul_f32_e32 v125, 0x3f7e222b, v43
	v_mul_f32_e32 v126, 0xbf52af12, v43
	;; [unrolled: 1-line block ×12, first 2 shown]
	v_fma_f32 v167, 0xbf3f9e67, v27, -v115
	v_fmac_f32_e32 v115, 0xbf3f9e67, v27
	v_fma_f32 v168, 0x3f62ad3f, v27, -v116
	v_fmac_f32_e32 v116, 0x3f62ad3f, v27
	;; [unrolled: 2-line block ×5, first 2 shown]
	v_fmamk_f32 v27, v29, 0xbeb58ec6, v119
	v_fma_f32 v119, 0xbeb58ec6, v29, -v119
	v_fmamk_f32 v172, v29, 0xbf3f9e67, v120
	v_fma_f32 v120, 0xbf3f9e67, v29, -v120
	;; [unrolled: 2-line block ×6, first 2 shown]
	v_fma_f32 v30, 0xbf3f9e67, v40, -v124
	v_fmac_f32_e32 v124, 0xbf3f9e67, v40
	v_add_f32_e32 v86, v1, v86
	v_add_f32_e32 v143, v1, v143
	;; [unrolled: 1-line block ×18, first 2 shown]
	v_mul_f32_e32 v137, 0x3eedf032, v81
	v_fma_f32 v177, 0x3df6dbef, v40, -v125
	v_fmac_f32_e32 v125, 0x3df6dbef, v40
	v_fma_f32 v178, 0x3f116cb1, v40, -v126
	v_fmac_f32_e32 v126, 0x3f116cb1, v40
	;; [unrolled: 2-line block ×5, first 2 shown]
	v_fmamk_f32 v40, v41, 0xbf3f9e67, v129
	v_fma_f32 v129, 0xbf3f9e67, v41, -v129
	v_fmamk_f32 v182, v41, 0x3df6dbef, v130
	v_fma_f32 v130, 0x3df6dbef, v41, -v130
	;; [unrolled: 2-line block ×6, first 2 shown]
	v_fma_f32 v42, 0xbf788fa5, v79, -v134
	v_fmac_f32_e32 v134, 0xbf788fa5, v79
	v_add_f32_e32 v22, v100, v86
	v_add_f32_e32 v23, v26, v142
	;; [unrolled: 1-line block ×18, first 2 shown]
	v_mul_f32_e32 v135, 0xbe750f2a, v81
	v_mul_f32_e32 v136, 0x3eedf032, v82
	v_add_f32_e32 v84, v154, v145
	v_add_f32_e32 v85, v97, v89
	;; [unrolled: 1-line block ×20, first 2 shown]
	v_fmamk_f32 v7, v80, 0x3f62ad3f, v137
	v_add_f32_e32 v86, v102, v90
	v_fmamk_f32 v187, v80, 0xbf788fa5, v135
	v_fma_f32 v135, 0xbf788fa5, v80, -v135
	v_add_f32_e32 v44, v164, v84
	v_add_f32_e32 v45, v107, v85
	v_add_f32_e32 v22, v120, v22
	v_add_f32_e32 v23, v168, v23
	v_add_f32_e32 v25, v173, v25
	v_add_f32_e32 v26, v116, v26
	v_add_f32_e32 v27, v121, v36
	v_add_f32_e32 v36, v169, v37
	v_add_f32_e32 v4, v176, v4
	v_add_f32_e32 v1, v29, v1
	v_add_f32_e32 v5, v30, v5
	v_add_f32_e32 v6, v40, v6
	v_add_f32_e32 v9, v177, v18
	v_add_f32_e32 v17, v125, v17
	v_add_f32_e32 v2, v2, v12
	v_add_f32_e32 v3, v3, v15
	v_fma_f32 v10, 0x3f62ad3f, v79, -v136
	v_mul_f32_e32 v12, 0xbf29c268, v82
	v_fmac_f32_e32 v136, 0x3f62ad3f, v79
	v_add_f32_e32 v7, v7, v16
	v_mul_f32_e32 v11, 0xbf29c268, v81
	v_mul_f32_e32 v16, 0x3f52af12, v82
	v_add_f32_e32 v87, v150, v146
	v_add_f32_e32 v88, v155, v147
	;; [unrolled: 1-line block ×22, first 2 shown]
	v_fma_f32 v10, 0xbf3f9e67, v79, -v12
	v_add_f32_e32 v8, v136, v17
	v_fmamk_f32 v13, v80, 0xbf3f9e67, v11
	v_fmac_f32_e32 v12, 0xbf3f9e67, v79
	v_fma_f32 v14, 0xbf3f9e67, v80, -v11
	v_fma_f32 v15, 0x3f116cb1, v79, -v16
	v_mul_f32_e32 v17, 0x3f52af12, v81
	v_add_f32_e32 v47, v160, v87
	v_add_f32_e32 v48, v165, v88
	;; [unrolled: 1-line block ×12, first 2 shown]
	v_fmamk_f32 v15, v80, 0x3f116cb1, v17
	v_fmac_f32_e32 v16, 0x3f116cb1, v79
	v_mul_f32_e32 v22, 0x3f7e222b, v81
	v_mul_lo_u16 v23, v28, 13
	v_add_f32_e32 v44, v170, v47
	v_add_f32_e32 v45, v175, v48
	;; [unrolled: 1-line block ×3, first 2 shown]
	v_fma_f32 v9, 0x3f62ad3f, v80, -v137
	v_mul_f32_e32 v20, 0xbf6f5d39, v82
	v_mul_f32_e32 v21, 0xbf6f5d39, v81
	v_add_f32_e32 v48, v171, v85
	v_add_f32_e32 v30, v132, v39
	v_fma_f32 v17, 0x3f116cb1, v80, -v17
	v_mul_f32_e32 v25, 0x3f7e222b, v82
	v_add_f32_e32 v46, v118, v83
	v_add_f32_e32 v47, v123, v84
	;; [unrolled: 1-line block ×4, first 2 shown]
	v_fmamk_f32 v27, v80, 0x3df6dbef, v22
	v_and_b32_e32 v29, 0xffff, v23
	v_add_f32_e32 v31, v180, v44
	v_add_f32_e32 v36, v185, v45
	;; [unrolled: 1-line block ×4, first 2 shown]
	v_fma_f32 v18, 0xbeb58ec6, v79, -v20
	v_fmamk_f32 v19, v80, 0xbeb58ec6, v21
	v_add_f32_e32 v39, v181, v48
	v_add_f32_e32 v17, v17, v30
	v_fma_f32 v26, 0x3df6dbef, v79, -v25
	v_fmac_f32_e32 v25, 0x3df6dbef, v79
	v_fma_f32 v30, 0x3df6dbef, v80, -v22
	v_add_f32_e32 v37, v128, v46
	v_add_f32_e32 v38, v133, v47
	v_fmac_f32_e32 v20, 0xbeb58ec6, v79
	v_fma_f32 v21, 0xbeb58ec6, v80, -v21
	v_add_f32_e32 v23, v27, v40
	v_lshl_add_u32 v40, v29, 3, v95
	v_add_f32_e32 v18, v18, v31
	v_add_f32_e32 v19, v19, v36
	;; [unrolled: 1-line block ×7, first 2 shown]
	ds_write2_b64 v40, v[4:5], v[2:3] offset1:1
	ds_write2_b64 v40, v[6:7], v[10:11] offset0:2 offset1:3
	ds_write2_b64 v40, v[14:15], v[18:19] offset0:4 offset1:5
	;; [unrolled: 1-line block ×5, first 2 shown]
	ds_write_b64 v40, v[0:1] offset:96
	s_waitcnt lgkmcnt(0)
	s_barrier
	buffer_gl0_inv
	ds_read2_b64 v[4:7], v93 offset1:26
	ds_read2_b64 v[16:19], v93 offset0:169 offset1:195
	ds_read2_b64 v[8:11], v93 offset0:52 offset1:78
	;; [unrolled: 1-line block ×5, first 2 shown]
                                        ; kill: def $vgpr2 killed $sgpr0 killed $exec
	s_and_saveexec_b32 s0, vcc_lo
	s_cbranch_execz .LBB0_3
; %bb.2:
	v_add_nc_u32_e32 v0, 0x400, v93
	ds_read2_b64 v[0:3], v0 offset0:28 offset1:197
.LBB0_3:
	s_or_b32 exec_lo, exec_lo, s0
	v_add_nc_u16 v31, v94, 26
	v_add_co_u32 v28, s0, v94, -13
	v_add_co_ci_u32_e64 v29, null, 0, -1, s0
	v_and_b32_e32 v30, 0xff, v31
	v_cndmask_b32_e32 v28, v28, v94, vcc_lo
	v_add_nc_u16 v37, v94, 52
	v_cndmask_b32_e64 v29, v29, 0, vcc_lo
	v_add_nc_u16 v38, v94, 0x4e
	v_mul_lo_u16 v30, 0x4f, v30
	v_add_nc_u16 v42, v94, 0x9c
	v_add_nc_u16 v39, v94, 0x68
	v_and_b32_e32 v43, 0xff, v37
	v_and_b32_e32 v45, 0xff, v38
	v_lshrrev_b16 v44, 10, v30
	v_lshlrev_b64 v[29:30], 3, v[28:29]
	v_add_nc_u16 v41, v94, 0x82
	v_and_b32_e32 v50, 0xff, v42
	v_and_b32_e32 v46, 0xff, v39
	v_mul_lo_u16 v43, 0x4f, v43
	v_mul_lo_u16 v45, 0x4f, v45
	v_add_co_u32 v29, s0, s2, v29
	v_add_co_ci_u32_e64 v30, s0, s3, v30, s0
	v_and_b32_e32 v48, 0xff, v41
	v_lshrrev_b16 v43, 10, v43
	v_lshrrev_b16 v45, 10, v45
	global_load_dwordx2 v[89:90], v[29:30], off
	v_mul_lo_u16 v29, 0x4f, v50
	v_mul_lo_u16 v46, 0x4f, v46
	;; [unrolled: 1-line block ×5, first 2 shown]
	v_lshrrev_b16 v29, 10, v29
	v_mul_lo_u16 v51, v45, 13
	v_lshrrev_b16 v46, 10, v46
	v_lshrrev_b16 v48, 10, v48
	v_mov_b32_e32 v36, 3
	v_mul_lo_u16 v29, v29, 13
	v_sub_nc_u16 v31, v31, v47
	v_sub_nc_u16 v30, v37, v49
	v_mul_lo_u16 v37, v46, 13
	v_sub_nc_u16 v38, v38, v51
	v_mul_lo_u16 v49, v48, 13
	v_sub_nc_u16 v29, v42, v29
	v_lshlrev_b32_sdwa v47, v36, v31 dst_sel:DWORD dst_unused:UNUSED_PAD src0_sel:DWORD src1_sel:BYTE_0
	v_lshlrev_b32_sdwa v50, v36, v30 dst_sel:DWORD dst_unused:UNUSED_PAD src0_sel:DWORD src1_sel:BYTE_0
	v_sub_nc_u16 v37, v39, v37
	v_lshlrev_b32_sdwa v39, v36, v38 dst_sel:DWORD dst_unused:UNUSED_PAD src0_sel:DWORD src1_sel:BYTE_0
	v_sub_nc_u16 v41, v41, v49
	v_and_b32_e32 v96, 0xff, v29
	s_clause 0x2
	global_load_dwordx2 v[91:92], v47, s[2:3]
	global_load_dwordx2 v[85:86], v50, s[2:3]
	global_load_dwordx2 v[87:88], v39, s[2:3]
	v_lshlrev_b32_sdwa v47, v36, v37 dst_sel:DWORD dst_unused:UNUSED_PAD src0_sel:DWORD src1_sel:BYTE_0
	v_lshlrev_b32_sdwa v36, v36, v41 dst_sel:DWORD dst_unused:UNUSED_PAD src0_sel:DWORD src1_sel:BYTE_0
	v_lshlrev_b32_e32 v29, 3, v96
	s_clause 0x1
	global_load_dwordx2 v[83:84], v47, s[2:3]
	global_load_dwordx2 v[81:82], v36, s[2:3]
	v_cmp_lt_u16_e64 s0, 12, v94
	global_load_dwordx2 v[79:80], v29, s[2:3]
	v_mad_u16 v31, v44, 26, v31
	s_waitcnt vmcnt(0) lgkmcnt(0)
	s_barrier
	v_cndmask_b32_e64 v29, 0, 26, s0
	buffer_gl0_inv
	v_and_b32_e32 v31, 0xff, v31
	v_add_nc_u32_e32 v28, v28, v29
	v_mov_b32_e32 v29, 26
	v_lshl_add_u32 v102, v31, 3, v95
	v_lshl_add_u32 v97, v28, 3, v95
	v_mul_u32_u24_sdwa v28, v43, v29 dst_sel:DWORD dst_unused:UNUSED_PAD src0_sel:WORD_0 src1_sel:DWORD
	v_mul_u32_u24_sdwa v36, v45, v29 dst_sel:DWORD dst_unused:UNUSED_PAD src0_sel:WORD_0 src1_sel:DWORD
	;; [unrolled: 1-line block ×4, first 2 shown]
	v_add_nc_u32_sdwa v28, v28, v30 dst_sel:DWORD dst_unused:UNUSED_PAD src0_sel:DWORD src1_sel:BYTE_0
	v_add_nc_u32_sdwa v30, v36, v38 dst_sel:DWORD dst_unused:UNUSED_PAD src0_sel:DWORD src1_sel:BYTE_0
	;; [unrolled: 1-line block ×4, first 2 shown]
	v_lshl_add_u32 v101, v28, 3, v95
	v_lshl_add_u32 v100, v30, 3, v95
	;; [unrolled: 1-line block ×4, first 2 shown]
	v_mul_f32_e32 v30, v16, v90
	v_mul_f32_e32 v28, v17, v90
	v_fmac_f32_e32 v30, v17, v89
	v_fma_f32 v16, v16, v89, -v28
	v_sub_f32_e32 v17, v5, v30
	v_sub_f32_e32 v16, v4, v16
	v_fma_f32 v5, v5, 2.0, -v17
	v_fma_f32 v4, v4, 2.0, -v16
	ds_write2_b64 v97, v[4:5], v[16:17] offset1:13
	v_mul_f32_e32 v28, v19, v92
	v_mul_f32_e32 v29, v18, v92
	;; [unrolled: 1-line block ×6, first 2 shown]
	v_fma_f32 v18, v18, v91, -v28
	v_mul_f32_e32 v38, v25, v84
	v_mul_f32_e32 v39, v24, v84
	;; [unrolled: 1-line block ×4, first 2 shown]
	v_fmac_f32_e32 v29, v19, v91
	v_fma_f32 v19, v20, v85, -v30
	v_fma_f32 v20, v22, v87, -v36
	v_fmac_f32_e32 v37, v23, v87
	v_mul_f32_e32 v22, v3, v80
	v_mul_f32_e32 v23, v2, v80
	v_fmac_f32_e32 v31, v21, v85
	v_fma_f32 v21, v24, v83, -v38
	v_fmac_f32_e32 v39, v25, v83
	v_fma_f32 v24, v26, v81, -v41
	;; [unrolled: 2-line block ×3, first 2 shown]
	v_fmac_f32_e32 v23, v3, v79
	v_sub_f32_e32 v2, v6, v18
	v_sub_f32_e32 v3, v7, v29
	;; [unrolled: 1-line block ×10, first 2 shown]
	v_fma_f32 v6, v6, 2.0, -v2
	v_fma_f32 v7, v7, 2.0, -v3
	v_sub_f32_e32 v26, v0, v22
	v_sub_f32_e32 v27, v1, v23
	v_fma_f32 v8, v8, 2.0, -v4
	v_fma_f32 v9, v9, 2.0, -v5
	v_fma_f32 v10, v10, 2.0, -v16
	v_fma_f32 v11, v11, 2.0, -v17
	v_fma_f32 v12, v12, 2.0, -v18
	v_fma_f32 v13, v13, 2.0, -v19
	v_fma_f32 v14, v14, 2.0, -v20
	v_fma_f32 v15, v15, 2.0, -v21
	ds_write2_b64 v102, v[6:7], v[2:3] offset1:13
	ds_write2_b64 v101, v[8:9], v[4:5] offset1:13
	;; [unrolled: 1-line block ×5, first 2 shown]
	s_and_saveexec_b32 s0, vcc_lo
	s_cbranch_execz .LBB0_5
; %bb.4:
	v_lshl_add_u32 v2, v96, 3, v95
	v_fma_f32 v1, v1, 2.0, -v27
	v_fma_f32 v0, v0, 2.0, -v26
	v_add_nc_u32_e32 v2, 0x800, v2
	ds_write2_b64 v2, v[0:1], v[26:27] offset0:56 offset1:69
.LBB0_5:
	s_or_b32 exec_lo, exec_lo, s0
	v_mad_u64_u32 v[4:5], null, 0x60, v94, s[2:3]
	s_waitcnt lgkmcnt(0)
	s_barrier
	buffer_gl0_inv
	v_add_nc_u32_e32 v41, 0x800, v93
	s_clause 0x5
	global_load_dwordx4 v[20:23], v[4:5], off offset:104
	global_load_dwordx4 v[16:19], v[4:5], off offset:120
	;; [unrolled: 1-line block ×6, first 2 shown]
	ds_read2_b64 v[28:31], v93 offset1:26
	ds_read2_b64 v[43:46], v93 offset0:52 offset1:78
	ds_read2_b64 v[103:106], v93 offset0:104 offset1:130
	;; [unrolled: 1-line block ×5, first 2 shown]
	ds_read_b64 v[119:120], v93 offset:2496
	s_waitcnt vmcnt(5) lgkmcnt(6)
	v_mul_f32_e32 v121, v30, v21
	v_mul_f32_e32 v47, v31, v21
	s_waitcnt lgkmcnt(5)
	v_mul_f32_e32 v50, v44, v23
	v_mul_f32_e32 v122, v43, v23
	s_waitcnt vmcnt(4) lgkmcnt(4)
	v_mul_f32_e32 v49, v103, v19
	s_waitcnt vmcnt(0) lgkmcnt(0)
	v_mul_f32_e32 v132, v120, v7
	v_mul_f32_e32 v39, v119, v7
	v_fmac_f32_e32 v121, v31, v20
	v_mul_f32_e32 v51, v46, v17
	v_mul_f32_e32 v123, v45, v17
	;; [unrolled: 1-line block ×7, first 2 shown]
	v_fma_f32 v133, v30, v20, -v47
	v_fma_f32 v134, v43, v22, -v50
	v_fmac_f32_e32 v122, v44, v22
	v_fmac_f32_e32 v49, v104, v18
	v_fma_f32 v43, v119, v6, -v132
	v_fmac_f32_e32 v39, v120, v6
	v_add_f32_e32 v104, v29, v121
	v_mul_f32_e32 v125, v106, v9
	v_mul_f32_e32 v48, v105, v9
	;; [unrolled: 1-line block ×10, first 2 shown]
	v_fma_f32 v135, v45, v16, -v51
	v_fmac_f32_e32 v123, v46, v16
	v_fma_f32 v51, v103, v18, -v124
	v_fma_f32 v30, v107, v10, -v126
	v_fmac_f32_e32 v24, v108, v10
	v_fma_f32 v44, v117, v4, -v131
	v_fmac_f32_e32 v38, v118, v4
	v_add_f32_e32 v103, v28, v133
	v_sub_f32_e32 v107, v133, v43
	v_sub_f32_e32 v108, v121, v39
	v_add_f32_e32 v104, v104, v122
	v_fma_f32 v50, v105, v8, -v125
	v_fmac_f32_e32 v48, v106, v8
	v_fma_f32 v31, v109, v0, -v127
	v_fmac_f32_e32 v25, v110, v0
	;; [unrolled: 2-line block ×5, first 2 shown]
	v_add_f32_e32 v105, v133, v43
	v_add_f32_e32 v106, v121, v39
	;; [unrolled: 1-line block ×4, first 2 shown]
	v_sub_f32_e32 v111, v134, v44
	v_sub_f32_e32 v112, v122, v38
	v_add_f32_e32 v103, v103, v134
	v_mul_f32_e32 v122, 0xbeedf032, v108
	v_mul_f32_e32 v127, 0xbeedf032, v107
	;; [unrolled: 1-line block ×12, first 2 shown]
	v_add_f32_e32 v104, v104, v123
	v_add_f32_e32 v113, v135, v45
	;; [unrolled: 1-line block ×3, first 2 shown]
	v_sub_f32_e32 v115, v135, v45
	v_sub_f32_e32 v116, v123, v37
	v_add_f32_e32 v118, v49, v36
	v_sub_f32_e32 v120, v49, v36
	v_mul_f32_e32 v137, 0xbf52af12, v112
	v_mul_f32_e32 v138, 0xbf52af12, v111
	;; [unrolled: 1-line block ×12, first 2 shown]
	v_add_f32_e32 v103, v103, v135
	v_fma_f32 v123, 0x3f62ad3f, v105, -v122
	v_fmamk_f32 v135, v106, 0x3f62ad3f, v127
	v_fmac_f32_e32 v122, 0x3f62ad3f, v105
	v_fma_f32 v127, 0x3f62ad3f, v106, -v127
	v_fma_f32 v177, 0x3f116cb1, v105, -v128
	v_fmamk_f32 v178, v106, 0x3f116cb1, v129
	v_fmac_f32_e32 v128, 0x3f116cb1, v105
	v_fma_f32 v129, 0x3f116cb1, v106, -v129
	;; [unrolled: 4-line block ×6, first 2 shown]
	v_add_f32_e32 v49, v104, v49
	v_add_f32_e32 v117, v51, v46
	v_sub_f32_e32 v119, v51, v46
	v_add_f32_e32 v124, v48, v42
	v_sub_f32_e32 v126, v48, v42
	v_mul_f32_e32 v147, 0xbf7e222b, v116
	v_mul_f32_e32 v148, 0xbf7e222b, v115
	;; [unrolled: 1-line block ×12, first 2 shown]
	v_fma_f32 v106, 0x3f116cb1, v109, -v137
	v_fmac_f32_e32 v137, 0x3f116cb1, v109
	v_fma_f32 v187, 0xbeb58ec6, v109, -v139
	v_fmac_f32_e32 v139, 0xbeb58ec6, v109
	;; [unrolled: 2-line block ×6, first 2 shown]
	v_fma_f32 v109, 0x3f62ad3f, v110, -v111
	v_add_f32_e32 v51, v103, v51
	v_add_f32_e32 v103, v28, v123
	;; [unrolled: 1-line block ×15, first 2 shown]
	v_mul_f32_e32 v157, 0xbf6f5d39, v120
	v_mul_f32_e32 v158, 0xbf6f5d39, v119
	;; [unrolled: 1-line block ×12, first 2 shown]
	v_fmamk_f32 v107, v110, 0x3f116cb1, v138
	v_fma_f32 v138, 0x3f116cb1, v110, -v138
	v_fmamk_f32 v188, v110, 0xbeb58ec6, v140
	v_fma_f32 v140, 0xbeb58ec6, v110, -v140
	;; [unrolled: 2-line block ×6, first 2 shown]
	v_fmac_f32_e32 v147, 0x3df6dbef, v113
	v_fma_f32 v197, 0xbf788fa5, v113, -v149
	v_fmac_f32_e32 v149, 0xbf788fa5, v113
	v_fma_f32 v199, 0xbeb58ec6, v113, -v151
	;; [unrolled: 2-line block ×6, first 2 shown]
	v_add_f32_e32 v29, v109, v29
	v_add_f32_e32 v48, v48, v24
	v_fmamk_f32 v111, v114, 0x3df6dbef, v148
	v_fma_f32 v148, 0x3df6dbef, v114, -v148
	v_fmamk_f32 v198, v114, 0xbf788fa5, v150
	v_fma_f32 v150, 0xbf788fa5, v114, -v150
	;; [unrolled: 2-line block ×6, first 2 shown]
	v_fmac_f32_e32 v157, 0xbeb58ec6, v117
	v_fma_f32 v207, 0xbf3f9e67, v117, -v159
	v_fmac_f32_e32 v159, 0xbf3f9e67, v117
	v_fma_f32 v209, 0x3f62ad3f, v117, -v161
	v_fmac_f32_e32 v161, 0x3f62ad3f, v117
	v_fma_f32 v211, 0x3df6dbef, v117, -v163
	v_fmac_f32_e32 v163, 0x3df6dbef, v117
	v_fma_f32 v213, 0xbf788fa5, v117, -v165
	v_fmac_f32_e32 v165, 0xbf788fa5, v117
	v_fma_f32 v215, 0x3f116cb1, v117, -v120
	v_fmac_f32_e32 v120, 0x3f116cb1, v117
	v_fma_f32 v117, 0x3f116cb1, v118, -v119
	v_add_f32_e32 v29, v113, v29
	v_add_f32_e32 v48, v48, v25
	;; [unrolled: 1-line block ×3, first 2 shown]
	v_sub_f32_e32 v125, v50, v47
	v_add_f32_e32 v122, v28, v122
	v_add_f32_e32 v127, v28, v177
	;; [unrolled: 1-line block ×26, first 2 shown]
	v_mul_f32_e32 v167, 0xbf29c268, v126
	v_mul_f32_e32 v168, 0xbf29c268, v125
	;; [unrolled: 1-line block ×4, first 2 shown]
	v_fmamk_f32 v115, v118, 0xbeb58ec6, v158
	v_fmamk_f32 v208, v118, 0xbf3f9e67, v160
	v_fma_f32 v160, 0xbf3f9e67, v118, -v160
	v_fmamk_f32 v212, v118, 0x3df6dbef, v164
	v_add_f32_e32 v107, v139, v128
	v_add_f32_e32 v122, v189, v177
	;; [unrolled: 1-line block ×18, first 2 shown]
	v_mul_f32_e32 v171, 0xbf52af12, v126
	v_mul_f32_e32 v172, 0xbf52af12, v125
	;; [unrolled: 1-line block ×4, first 2 shown]
	v_fma_f32 v158, 0xbeb58ec6, v118, -v158
	v_fmamk_f32 v210, v118, 0x3f62ad3f, v162
	v_fma_f32 v162, 0x3f62ad3f, v118, -v162
	v_fma_f32 v164, 0x3df6dbef, v118, -v164
	v_fmamk_f32 v214, v118, 0xbf788fa5, v166
	v_fma_f32 v166, 0xbf788fa5, v118, -v166
	v_fmamk_f32 v216, v118, 0x3f116cb1, v119
	;; [unrolled: 2-line block ×3, first 2 shown]
	v_fmac_f32_e32 v167, 0xbf3f9e67, v121
	v_fmamk_f32 v218, v124, 0x3df6dbef, v170
	v_fma_f32 v170, 0x3df6dbef, v124, -v170
	v_fmamk_f32 v222, v124, 0xbf788fa5, v174
	v_add_f32_e32 v106, v188, v135
	v_add_f32_e32 v135, v194, v182
	;; [unrolled: 1-line block ×22, first 2 shown]
	v_mul_f32_e32 v36, 0xbf6f5d39, v126
	v_mul_f32_e32 v169, 0x3f7e222b, v126
	;; [unrolled: 1-line block ×3, first 2 shown]
	v_fma_f32 v168, 0xbf3f9e67, v124, -v168
	v_fma_f32 v219, 0x3f116cb1, v121, -v171
	v_fmamk_f32 v220, v124, 0x3f116cb1, v172
	v_fma_f32 v221, 0xbf788fa5, v121, -v173
	v_fmac_f32_e32 v173, 0xbf788fa5, v121
	v_fma_f32 v174, 0xbf788fa5, v124, -v174
	v_add_f32_e32 v105, v197, v105
	v_add_f32_e32 v130, v204, v135
	v_add_f32_e32 v131, v155, v134
	v_add_f32_e32 v134, v206, v138
	v_add_f32_e32 v104, v158, v104
	v_add_f32_e32 v109, v209, v109
	v_add_f32_e32 v110, v210, v110
	v_add_f32_e32 v113, v211, v122
	v_add_f32_e32 v115, v163, v127
	v_add_f32_e32 v116, v164, v128
	v_add_f32_e32 v122, v213, v129
	v_add_f32_e32 v128, v166, v132
	v_add_f32_e32 v129, v215, v133
	v_add_f32_e32 v47, v119, v51
	v_add_f32_e32 v48, v167, v103
	v_add_f32_e32 v28, v28, v46
	v_add_f32_e32 v103, v170, v108
	v_add_f32_e32 v108, v222, v114
	v_add_f32_e32 v29, v29, v39
	v_fma_f32 v37, 0x3f62ad3f, v124, -v176
	v_fma_f32 v38, 0xbeb58ec6, v121, -v36
	v_mul_f32_e32 v39, 0xbf6f5d39, v125
	v_sub_f32_e32 v114, v24, v25
	v_sub_f32_e32 v119, v30, v31
	v_fma_f32 v217, 0x3df6dbef, v121, -v169
	v_fmac_f32_e32 v169, 0x3df6dbef, v121
	v_fmac_f32_e32 v171, 0x3f116cb1, v121
	v_fma_f32 v223, 0x3f62ad3f, v121, -v175
	v_add_f32_e32 v106, v198, v106
	v_add_f32_e32 v107, v149, v107
	;; [unrolled: 1-line block ×13, first 2 shown]
	v_fmac_f32_e32 v175, 0x3f62ad3f, v121
	v_add_f32_e32 v115, v37, v128
	v_add_f32_e32 v116, v38, v129
	v_fmamk_f32 v37, v124, 0xbeb58ec6, v39
	v_add_f32_e32 v118, v30, v31
	v_mul_f32_e32 v38, 0xbe750f2a, v114
	v_fmac_f32_e32 v36, 0xbeb58ec6, v121
	v_fma_f32 v30, 0xbeb58ec6, v124, -v39
	v_add_f32_e32 v121, v24, v25
	v_mul_f32_e32 v25, 0xbe750f2a, v119
	v_add_f32_e32 v106, v208, v106
	v_add_f32_e32 v107, v159, v107
	;; [unrolled: 1-line block ×6, first 2 shown]
	v_fma_f32 v24, 0xbf788fa5, v118, -v38
	v_add_f32_e32 v122, v37, v130
	v_add_f32_e32 v117, v30, v117
	v_fmamk_f32 v30, v121, 0xbf788fa5, v25
	v_mul_f32_e32 v39, 0x3eedf032, v114
	v_fmac_f32_e32 v38, 0xbf788fa5, v118
	v_mul_f32_e32 v37, 0x3eedf032, v119
	v_mul_f32_e32 v44, 0xbf29c268, v114
	v_fma_f32 v172, 0x3f116cb1, v124, -v172
	v_add_f32_e32 v112, v162, v112
	v_add_f32_e32 v51, v218, v106
	;; [unrolled: 1-line block ×6, first 2 shown]
	v_fma_f32 v31, 0xbf788fa5, v121, -v25
	v_add_f32_e32 v25, v30, v47
	v_fma_f32 v36, 0x3f62ad3f, v118, -v39
	v_add_f32_e32 v30, v38, v48
	v_fmamk_f32 v38, v121, 0x3f62ad3f, v37
	v_fmac_f32_e32 v39, 0x3f62ad3f, v118
	v_fma_f32 v42, 0x3f62ad3f, v121, -v37
	v_fma_f32 v43, 0xbf3f9e67, v118, -v44
	v_mul_f32_e32 v47, 0xbf29c268, v119
	v_mul_f32_e32 v48, 0x3f52af12, v114
	v_add_f32_e32 v106, v172, v112
	v_add_f32_e32 v107, v221, v113
	;; [unrolled: 1-line block ×7, first 2 shown]
	v_fmamk_f32 v43, v121, 0xbf3f9e67, v47
	v_fmac_f32_e32 v44, 0xbf3f9e67, v118
	v_fma_f32 v46, 0xbf3f9e67, v121, -v47
	v_fma_f32 v47, 0x3f116cb1, v118, -v48
	v_mul_f32_e32 v49, 0x3f52af12, v119
	v_fmamk_f32 v224, v124, 0x3f62ad3f, v176
	v_mul_f32_e32 v103, 0xbf6f5d39, v114
	v_mul_f32_e32 v104, 0xbf6f5d39, v119
	v_add_f32_e32 v43, v43, v45
	v_add_f32_e32 v44, v44, v105
	;; [unrolled: 1-line block ×4, first 2 shown]
	v_fmamk_f32 v47, v121, 0x3f116cb1, v49
	v_fmac_f32_e32 v48, 0x3f116cb1, v118
	v_mul_f32_e32 v107, 0x3f7e222b, v114
	v_mul_f32_e32 v105, 0x3f7e222b, v119
	v_add_f32_e32 v127, v165, v131
	v_add_f32_e32 v112, v224, v123
	;; [unrolled: 1-line block ×3, first 2 shown]
	v_fma_f32 v50, 0xbeb58ec6, v118, -v103
	v_fmamk_f32 v51, v121, 0xbeb58ec6, v104
	v_add_f32_e32 v47, v47, v108
	v_add_f32_e32 v48, v48, v109
	v_fma_f32 v106, 0x3df6dbef, v118, -v107
	v_fmamk_f32 v108, v121, 0x3df6dbef, v105
	v_fmac_f32_e32 v107, 0x3df6dbef, v118
	v_fma_f32 v109, 0x3df6dbef, v121, -v105
	v_add_f32_e32 v113, v175, v127
	v_fma_f32 v49, 0x3f116cb1, v121, -v49
	v_fmac_f32_e32 v103, 0xbeb58ec6, v118
	v_fma_f32 v104, 0xbeb58ec6, v121, -v104
	v_add_f32_e32 v50, v50, v111
	v_add_f32_e32 v51, v51, v112
	;; [unrolled: 1-line block ×9, first 2 shown]
	ds_write2_b64 v93, v[28:29], v[24:25] offset1:26
	ds_write2_b64 v93, v[36:37], v[42:43] offset0:52 offset1:78
	ds_write2_b64 v93, v[46:47], v[50:51] offset0:104 offset1:130
	;; [unrolled: 1-line block ×5, first 2 shown]
	ds_write_b64 v93, v[30:31] offset:2496
	v_add_co_u32 v24, s0, 0xa90, v34
	v_add_co_ci_u32_e64 v25, s0, 0, v35, s0
	v_add_co_u32 v28, s0, 0x1000, v34
	v_add_co_ci_u32_e64 v29, s0, 0, v35, s0
	s_waitcnt lgkmcnt(0)
	s_barrier
	buffer_gl0_inv
	s_clause 0xc
	global_load_dwordx2 v[50:51], v[32:33], off offset:656
	global_load_dwordx2 v[107:108], v[24:25], off offset:208
	;; [unrolled: 1-line block ×13, first 2 shown]
	ds_read2_b64 v[28:31], v93 offset1:26
	ds_read2_b64 v[32:35], v93 offset0:52 offset1:78
	ds_read2_b64 v[36:39], v93 offset0:104 offset1:130
	;; [unrolled: 1-line block ×5, first 2 shown]
	ds_read_b64 v[129:130], v93 offset:2496
	s_waitcnt vmcnt(12) lgkmcnt(6)
	v_mul_f32_e32 v131, v29, v51
	v_mul_f32_e32 v132, v28, v51
	s_waitcnt vmcnt(11)
	v_mul_f32_e32 v133, v31, v108
	v_mul_f32_e32 v51, v30, v108
	s_waitcnt vmcnt(10) lgkmcnt(5)
	v_mul_f32_e32 v134, v33, v110
	v_mul_f32_e32 v108, v32, v110
	s_waitcnt vmcnt(9)
	v_mul_f32_e32 v135, v35, v112
	v_mul_f32_e32 v110, v34, v112
	;; [unrolled: 6-line block ×6, first 2 shown]
	s_waitcnt vmcnt(0) lgkmcnt(0)
	v_mul_f32_e32 v144, v130, v128
	v_mul_f32_e32 v126, v129, v128
	v_fma_f32 v131, v28, v50, -v131
	v_fmac_f32_e32 v132, v29, v50
	v_fma_f32 v50, v30, v107, -v133
	v_fmac_f32_e32 v51, v31, v107
	;; [unrolled: 2-line block ×13, first 2 shown]
	ds_write2_b64 v93, v[131:132], v[50:51] offset1:26
	ds_write2_b64 v93, v[107:108], v[109:110] offset0:52 offset1:78
	ds_write2_b64 v93, v[111:112], v[113:114] offset0:104 offset1:130
	;; [unrolled: 1-line block ×5, first 2 shown]
	ds_write_b64 v93, v[125:126] offset:2496
	s_waitcnt lgkmcnt(0)
	s_barrier
	buffer_gl0_inv
	ds_read2_b64 v[42:45], v93 offset1:26
	ds_read_b64 v[24:25], v93 offset:2496
	ds_read2_b64 v[46:49], v93 offset0:52 offset1:78
	ds_read2_b64 v[103:106], v41 offset0:4 offset1:30
	;; [unrolled: 1-line block ×5, first 2 shown]
	s_waitcnt lgkmcnt(0)
	s_barrier
	buffer_gl0_inv
	v_add_f32_e32 v50, v42, v44
	v_add_f32_e32 v51, v43, v45
	v_add_f32_e32 v108, v25, v45
	v_add_f32_e32 v109, v105, v46
	v_add_f32_e32 v110, v106, v47
	v_sub_f32_e32 v111, v46, v105
	v_sub_f32_e32 v112, v47, v106
	v_add_f32_e32 v46, v50, v46
	v_add_f32_e32 v47, v51, v47
	v_add_f32_e32 v117, v38, v32
	v_add_f32_e32 v118, v39, v33
	v_sub_f32_e32 v119, v32, v38
	v_add_f32_e32 v46, v46, v48
	v_add_f32_e32 v47, v47, v49
	v_sub_f32_e32 v120, v33, v39
	v_sub_f32_e32 v45, v45, v25
	v_add_f32_e32 v107, v24, v44
	v_add_f32_e32 v32, v46, v32
	;; [unrolled: 1-line block ×3, first 2 shown]
	v_sub_f32_e32 v44, v44, v24
	v_mul_f32_e32 v50, 0xbeedf032, v45
	v_add_f32_e32 v113, v103, v48
	v_add_f32_e32 v32, v32, v34
	;; [unrolled: 1-line block ×3, first 2 shown]
	v_sub_f32_e32 v115, v48, v103
	v_sub_f32_e32 v116, v49, v104
	v_mul_f32_e32 v51, 0x3f62ad3f, v108
	v_add_f32_e32 v32, v32, v28
	v_add_f32_e32 v33, v33, v29
	v_mul_f32_e32 v121, 0xbf52af12, v45
	v_mul_f32_e32 v122, 0x3f116cb1, v108
	;; [unrolled: 1-line block ×3, first 2 shown]
	v_add_f32_e32 v32, v32, v30
	v_add_f32_e32 v33, v33, v31
	v_mul_f32_e32 v124, 0x3df6dbef, v108
	v_mul_f32_e32 v125, 0xbf6f5d39, v45
	;; [unrolled: 1-line block ×8, first 2 shown]
	v_fmamk_f32 v48, v107, 0x3f62ad3f, v50
	v_add_f32_e32 v32, v32, v36
	v_add_f32_e32 v33, v33, v37
	;; [unrolled: 1-line block ×3, first 2 shown]
	v_mul_f32_e32 v130, 0x3f116cb1, v110
	v_mul_f32_e32 v131, 0xbf6f5d39, v112
	;; [unrolled: 1-line block ×17, first 2 shown]
	v_fmamk_f32 v49, v44, 0x3eedf032, v51
	v_fma_f32 v50, 0x3f62ad3f, v107, -v50
	v_fmac_f32_e32 v51, 0xbeedf032, v44
	v_fmamk_f32 v151, v107, 0x3f116cb1, v121
	v_fmamk_f32 v152, v44, 0x3f52af12, v122
	v_fma_f32 v121, 0x3f116cb1, v107, -v121
	v_fmac_f32_e32 v122, 0xbf52af12, v44
	v_fmamk_f32 v153, v107, 0x3df6dbef, v123
	v_fmamk_f32 v154, v44, 0x3f7e222b, v124
	v_fma_f32 v123, 0x3df6dbef, v107, -v123
	v_fmac_f32_e32 v124, 0xbf7e222b, v44
	v_fmamk_f32 v155, v107, 0xbeb58ec6, v125
	v_fmamk_f32 v156, v44, 0x3f6f5d39, v126
	v_fma_f32 v125, 0xbeb58ec6, v107, -v125
	v_fmac_f32_e32 v126, 0xbf6f5d39, v44
	v_fmamk_f32 v157, v107, 0xbf3f9e67, v127
	v_fmamk_f32 v158, v44, 0x3f29c268, v128
	v_fma_f32 v127, 0xbf3f9e67, v107, -v127
	v_fmac_f32_e32 v128, 0xbf29c268, v44
	v_fmamk_f32 v159, v107, 0xbf788fa5, v45
	v_fmamk_f32 v160, v44, 0x3e750f2a, v108
	v_fma_f32 v45, 0xbf788fa5, v107, -v45
	v_fmac_f32_e32 v108, 0xbe750f2a, v44
	v_fmamk_f32 v44, v109, 0x3f116cb1, v129
	v_add_f32_e32 v46, v42, v48
	v_add_f32_e32 v32, v32, v38
	;; [unrolled: 1-line block ×3, first 2 shown]
	v_mul_f32_e32 v140, 0x3df6dbef, v114
	v_mul_f32_e32 v142, 0xbf788fa5, v114
	;; [unrolled: 1-line block ×7, first 2 shown]
	v_fmamk_f32 v107, v111, 0x3f52af12, v130
	v_fma_f32 v129, 0x3f116cb1, v109, -v129
	v_fmac_f32_e32 v130, 0xbf52af12, v111
	v_fmamk_f32 v161, v109, 0xbeb58ec6, v131
	v_fmamk_f32 v162, v111, 0x3f6f5d39, v132
	v_fma_f32 v131, 0xbeb58ec6, v109, -v131
	v_fmac_f32_e32 v132, 0xbf6f5d39, v111
	v_fmamk_f32 v163, v109, 0xbf788fa5, v133
	;; [unrolled: 4-line block ×6, first 2 shown]
	v_fma_f32 v139, 0x3df6dbef, v113, -v139
	v_fmamk_f32 v171, v113, 0xbf788fa5, v141
	v_fma_f32 v141, 0xbf788fa5, v113, -v141
	v_fmamk_f32 v173, v113, 0xbeb58ec6, v143
	;; [unrolled: 2-line block ×5, first 2 shown]
	v_fma_f32 v113, 0xbf3f9e67, v113, -v116
	v_add_f32_e32 v47, v43, v49
	v_add_f32_e32 v48, v42, v50
	;; [unrolled: 1-line block ×26, first 2 shown]
	v_mul_f32_e32 v150, 0xbeb58ec6, v118
	v_fmamk_f32 v112, v115, 0x3f7e222b, v140
	v_fmac_f32_e32 v140, 0xbf7e222b, v115
	v_fmamk_f32 v172, v115, 0x3e750f2a, v142
	v_fmac_f32_e32 v142, 0xbe750f2a, v115
	;; [unrolled: 2-line block ×6, first 2 shown]
	v_fmamk_f32 v115, v117, 0xbeb58ec6, v149
	v_add_f32_e32 v45, v107, v47
	v_add_f32_e32 v46, v129, v48
	;; [unrolled: 1-line block ×19, first 2 shown]
	v_fmamk_f32 v43, v119, 0x3f6f5d39, v150
	v_mul_f32_e32 v44, 0x3f29c268, v120
	v_fma_f32 v113, 0xbeb58ec6, v117, -v149
	v_mul_f32_e32 v114, 0xbf3f9e67, v118
	v_add_f32_e32 v107, v163, v122
	v_add_f32_e32 v48, v171, v48
	;; [unrolled: 1-line block ×6, first 2 shown]
	v_fmamk_f32 v45, v117, 0xbf3f9e67, v44
	v_add_f32_e32 v46, v113, v46
	v_fmamk_f32 v113, v119, 0xbf29c268, v114
	v_mul_f32_e32 v115, 0x3eedf032, v120
	v_fma_f32 v44, 0xbf3f9e67, v117, -v44
	v_fmac_f32_e32 v114, 0x3f29c268, v119
	v_add_f32_e32 v108, v164, v151
	v_add_f32_e32 v116, v133, v123
	;; [unrolled: 1-line block ×7, first 2 shown]
	v_fmamk_f32 v49, v117, 0x3f62ad3f, v115
	v_mul_f32_e32 v113, 0x3f62ad3f, v118
	v_add_f32_e32 v44, v44, v50
	v_add_f32_e32 v50, v114, v51
	v_mul_f32_e32 v51, 0xbf7e222b, v120
	v_add_f32_e32 v123, v166, v153
	v_add_f32_e32 v108, v174, v108
	;; [unrolled: 1-line block ×6, first 2 shown]
	v_fmamk_f32 v107, v119, 0xbeedf032, v113
	v_fma_f32 v114, 0x3f62ad3f, v117, -v115
	v_fmac_f32_e32 v113, 0x3eedf032, v119
	v_fmamk_f32 v115, v117, 0x3df6dbef, v51
	v_mul_f32_e32 v122, 0x3df6dbef, v118
	v_add_f32_e32 v124, v135, v125
	v_add_f32_e32 v127, v137, v127
	;; [unrolled: 1-line block ×7, first 2 shown]
	v_fmamk_f32 v111, v119, 0x3f7e222b, v122
	v_mul_f32_e32 v113, 0x3e750f2a, v120
	v_add_f32_e32 v125, v136, v126
	v_add_f32_e32 v126, v167, v154
	;; [unrolled: 1-line block ×5, first 2 shown]
	v_fma_f32 v51, 0x3df6dbef, v117, -v51
	v_mul_f32_e32 v114, 0xbf788fa5, v118
	v_add_f32_e32 v111, v111, v112
	v_fmamk_f32 v112, v117, 0xbf788fa5, v113
	v_fma_f32 v113, 0xbf788fa5, v117, -v113
	v_add_f32_e32 v130, v169, v156
	v_add_f32_e32 v116, v177, v126
	;; [unrolled: 1-line block ×4, first 2 shown]
	v_fmamk_f32 v51, v119, 0xbe750f2a, v114
	v_mul_f32_e32 v115, 0x3f52af12, v120
	v_add_f32_e32 v104, v113, v104
	v_sub_f32_e32 v113, v35, v37
	v_add_f32_e32 v131, v170, v157
	v_add_f32_e32 v105, v179, v130
	;; [unrolled: 1-line block ×4, first 2 shown]
	v_fmamk_f32 v103, v117, 0x3f116cb1, v115
	v_mul_f32_e32 v116, 0x3f116cb1, v118
	v_add_f32_e32 v118, v36, v34
	v_mul_f32_e32 v120, 0xbf29c268, v113
	v_add_f32_e32 v35, v37, v35
	v_add_f32_e32 v47, v140, v47
	;; [unrolled: 1-line block ×3, first 2 shown]
	v_fmac_f32_e32 v150, 0xbf6f5d39, v119
	v_add_f32_e32 v103, v103, v105
	v_fmamk_f32 v105, v119, 0xbf52af12, v116
	v_fma_f32 v37, 0x3f116cb1, v117, -v115
	v_fmac_f32_e32 v116, 0x3f52af12, v119
	v_sub_f32_e32 v34, v34, v36
	v_fmamk_f32 v36, v118, 0xbf3f9e67, v120
	v_mul_f32_e32 v115, 0xbf3f9e67, v35
	v_add_f32_e32 v47, v150, v47
	v_add_f32_e32 v105, v105, v106
	;; [unrolled: 1-line block ×5, first 2 shown]
	v_fmamk_f32 v36, v34, 0x3f29c268, v115
	v_mul_f32_e32 v42, 0x3f7e222b, v113
	v_fma_f32 v106, 0xbf3f9e67, v118, -v120
	v_fmac_f32_e32 v115, 0xbf29c268, v34
	v_mul_f32_e32 v116, 0x3df6dbef, v35
	v_add_f32_e32 v36, v36, v43
	v_fmamk_f32 v43, v118, 0x3df6dbef, v42
	v_add_f32_e32 v46, v106, v46
	v_add_f32_e32 v47, v115, v47
	v_fmamk_f32 v106, v34, 0xbf7e222b, v116
	v_mul_f32_e32 v115, 0xbf52af12, v113
	v_fma_f32 v42, 0x3df6dbef, v118, -v42
	v_fmac_f32_e32 v116, 0x3f7e222b, v34
	v_add_f32_e32 v43, v43, v45
	v_add_f32_e32 v45, v106, v48
	v_fmamk_f32 v48, v118, 0x3f116cb1, v115
	v_mul_f32_e32 v106, 0x3f116cb1, v35
	v_add_f32_e32 v42, v42, v44
	v_add_f32_e32 v44, v116, v50
	v_mul_f32_e32 v50, 0x3e750f2a, v113
	v_add_f32_e32 v48, v48, v49
	v_fmamk_f32 v49, v34, 0x3f52af12, v106
	v_fma_f32 v115, 0x3f116cb1, v118, -v115
	v_fmac_f32_e32 v106, 0xbf52af12, v34
	v_fmamk_f32 v116, v118, 0xbf788fa5, v50
	v_mul_f32_e32 v117, 0xbf788fa5, v35
	v_add_f32_e32 v128, v138, v128
	v_add_f32_e32 v39, v146, v125
	v_fmac_f32_e32 v122, 0xbf7e222b, v119
	v_add_f32_e32 v49, v49, v107
	v_add_f32_e32 v107, v115, v108
	;; [unrolled: 1-line block ×4, first 2 shown]
	v_fmamk_f32 v109, v34, 0xbe750f2a, v117
	v_mul_f32_e32 v110, 0x3eedf032, v113
	v_add_f32_e32 v121, v148, v128
	v_add_f32_e32 v39, v122, v39
	v_fmac_f32_e32 v114, 0x3e750f2a, v119
	v_fma_f32 v50, 0xbf788fa5, v118, -v50
	v_mul_f32_e32 v115, 0x3f62ad3f, v35
	v_fmac_f32_e32 v117, 0x3e750f2a, v34
	v_add_f32_e32 v109, v109, v111
	v_fmamk_f32 v111, v118, 0x3f62ad3f, v110
	v_fma_f32 v110, 0x3f62ad3f, v118, -v110
	v_add_f32_e32 v114, v114, v121
	v_add_f32_e32 v50, v50, v38
	v_fmamk_f32 v38, v34, 0xbeedf032, v115
	v_add_f32_e32 v116, v117, v39
	v_mul_f32_e32 v39, 0xbf6f5d39, v113
	v_fmac_f32_e32 v115, 0x3eedf032, v34
	v_add_f32_e32 v104, v110, v104
	v_sub_f32_e32 v110, v29, v31
	v_add_f32_e32 v111, v111, v112
	v_add_f32_e32 v51, v38, v51
	v_fmamk_f32 v38, v118, 0xbeb58ec6, v39
	v_mul_f32_e32 v35, 0xbeb58ec6, v35
	v_add_f32_e32 v112, v115, v114
	v_add_f32_e32 v113, v30, v28
	v_mul_f32_e32 v114, 0xbe750f2a, v110
	v_add_f32_e32 v115, v31, v29
	v_add_f32_e32 v103, v38, v103
	v_fmamk_f32 v38, v34, 0x3f6f5d39, v35
	v_fmac_f32_e32 v35, 0xbf6f5d39, v34
	v_sub_f32_e32 v117, v28, v30
	v_fmamk_f32 v28, v113, 0xbf788fa5, v114
	v_mul_f32_e32 v30, 0xbf788fa5, v115
	v_mul_f32_e32 v31, 0x3eedf032, v110
	v_fma_f32 v29, 0xbeb58ec6, v118, -v39
	v_add_f32_e32 v119, v35, v24
	v_add_f32_e32 v28, v28, v25
	v_fmamk_f32 v24, v117, 0x3e750f2a, v30
	v_fma_f32 v25, 0xbf788fa5, v113, -v114
	v_fmac_f32_e32 v30, 0xbe750f2a, v117
	v_mul_f32_e32 v35, 0x3f62ad3f, v115
	v_fmamk_f32 v34, v113, 0x3f62ad3f, v31
	v_add_f32_e32 v118, v29, v37
	v_add_f32_e32 v29, v24, v36
	;; [unrolled: 1-line block ×4, first 2 shown]
	v_fmamk_f32 v36, v117, 0xbeedf032, v35
	v_mul_f32_e32 v37, 0xbf29c268, v110
	v_add_f32_e32 v30, v34, v43
	v_fma_f32 v34, 0x3f62ad3f, v113, -v31
	v_fmac_f32_e32 v35, 0x3eedf032, v117
	v_mul_f32_e32 v39, 0xbf3f9e67, v115
	v_mul_f32_e32 v43, 0x3f52af12, v110
	v_add_f32_e32 v105, v38, v105
	v_add_f32_e32 v31, v36, v45
	;; [unrolled: 1-line block ×4, first 2 shown]
	v_fmamk_f32 v38, v117, 0x3f29c268, v39
	v_fma_f32 v42, 0xbf3f9e67, v113, -v37
	v_fmamk_f32 v44, v113, 0x3f116cb1, v43
	v_mul_f32_e32 v45, 0x3f116cb1, v115
	v_fmamk_f32 v36, v113, 0xbf3f9e67, v37
	v_fmac_f32_e32 v39, 0xbf29c268, v117
	v_add_f32_e32 v37, v38, v49
	v_add_f32_e32 v38, v42, v107
	;; [unrolled: 1-line block ×3, first 2 shown]
	v_fmamk_f32 v44, v117, 0xbf52af12, v45
	v_mul_f32_e32 v46, 0xbf6f5d39, v110
	v_fma_f32 v47, 0x3f116cb1, v113, -v43
	v_mul_f32_e32 v49, 0xbeb58ec6, v115
	v_add_f32_e32 v36, v36, v48
	v_add_f32_e32 v39, v39, v106
	;; [unrolled: 1-line block ×3, first 2 shown]
	v_fmamk_f32 v48, v113, 0xbeb58ec6, v46
	v_add_f32_e32 v44, v47, v50
	v_fmamk_f32 v47, v117, 0x3f6f5d39, v49
	v_fma_f32 v50, 0xbeb58ec6, v113, -v46
	v_mul_f32_e32 v106, 0x3f7e222b, v110
	v_mul_f32_e32 v107, 0x3df6dbef, v115
	v_add_f32_e32 v46, v48, v111
	v_add_f32_e32 v47, v47, v51
	;; [unrolled: 1-line block ×3, first 2 shown]
	v_fmamk_f32 v50, v113, 0x3df6dbef, v106
	v_fmamk_f32 v51, v117, 0xbf7e222b, v107
	v_fma_f32 v104, 0x3df6dbef, v113, -v106
	v_fmac_f32_e32 v107, 0x3f7e222b, v117
	v_fmac_f32_e32 v45, 0x3f52af12, v117
	v_fmac_f32_e32 v49, 0xbf6f5d39, v117
	v_add_f32_e32 v50, v50, v103
	v_add_f32_e32 v51, v51, v105
	;; [unrolled: 1-line block ×6, first 2 shown]
	ds_write2_b64 v40, v[32:33], v[28:29] offset1:1
	ds_write2_b64 v40, v[30:31], v[36:37] offset0:2 offset1:3
	ds_write2_b64 v40, v[42:43], v[46:47] offset0:4 offset1:5
	;; [unrolled: 1-line block ×5, first 2 shown]
	ds_write_b64 v40, v[24:25] offset:96
	s_waitcnt lgkmcnt(0)
	s_barrier
	buffer_gl0_inv
	ds_read2_b64 v[36:39], v93 offset1:26
	ds_read2_b64 v[48:51], v93 offset0:169 offset1:195
	ds_read2_b64 v[28:31], v93 offset0:52 offset1:78
	;; [unrolled: 1-line block ×5, first 2 shown]
	s_and_saveexec_b32 s0, vcc_lo
	s_cbranch_execz .LBB0_7
; %bb.6:
	v_add_nc_u32_e32 v24, 0x400, v93
	ds_read2_b64 v[24:27], v24 offset0:28 offset1:197
.LBB0_7:
	s_or_b32 exec_lo, exec_lo, s0
	s_waitcnt lgkmcnt(4)
	v_mul_f32_e32 v103, v90, v49
	v_mul_f32_e32 v90, v90, v48
	v_mul_f32_e32 v104, v92, v51
	v_mul_f32_e32 v92, v92, v50
	s_waitcnt lgkmcnt(0)
	v_fmac_f32_e32 v103, v89, v48
	v_fma_f32 v48, v89, v49, -v90
	v_mul_f32_e32 v49, v86, v45
	v_fmac_f32_e32 v104, v91, v50
	v_fma_f32 v50, v91, v51, -v92
	v_mul_f32_e32 v51, v86, v44
	v_mul_f32_e32 v86, v88, v47
	;; [unrolled: 1-line block ×3, first 2 shown]
	v_fmac_f32_e32 v49, v85, v44
	v_mul_f32_e32 v89, v84, v41
	v_mul_f32_e32 v44, v84, v40
	v_fma_f32 v45, v85, v45, -v51
	v_fmac_f32_e32 v86, v87, v46
	v_mul_f32_e32 v51, v82, v43
	v_mul_f32_e32 v46, v82, v42
	v_fma_f32 v47, v87, v47, -v88
	v_fmac_f32_e32 v89, v83, v40
	v_fma_f32 v82, v83, v41, -v44
	v_sub_f32_e32 v40, v36, v103
	v_sub_f32_e32 v41, v37, v48
	v_fmac_f32_e32 v51, v81, v42
	v_fma_f32 v81, v81, v43, -v46
	v_sub_f32_e32 v42, v38, v104
	v_sub_f32_e32 v43, v39, v50
	;; [unrolled: 1-line block ×8, first 2 shown]
	v_fma_f32 v36, v36, 2.0, -v40
	v_fma_f32 v37, v37, 2.0, -v41
	v_sub_f32_e32 v50, v34, v51
	v_sub_f32_e32 v51, v35, v81
	v_fma_f32 v38, v38, 2.0, -v42
	v_fma_f32 v39, v39, 2.0, -v43
	;; [unrolled: 1-line block ×10, first 2 shown]
	s_barrier
	buffer_gl0_inv
	ds_write2_b64 v97, v[36:37], v[40:41] offset1:13
	ds_write2_b64 v102, v[38:39], v[42:43] offset1:13
	;; [unrolled: 1-line block ×6, first 2 shown]
	s_and_saveexec_b32 s0, vcc_lo
	s_cbranch_execz .LBB0_9
; %bb.8:
	v_mul_f32_e32 v28, v80, v26
	v_mul_f32_e32 v29, v80, v27
	v_fma_f32 v27, v79, v27, -v28
	v_fmac_f32_e32 v29, v79, v26
	v_lshl_add_u32 v28, v96, 3, v95
	v_sub_f32_e32 v27, v25, v27
	v_sub_f32_e32 v26, v24, v29
	v_add_nc_u32_e32 v28, 0x800, v28
	v_fma_f32 v25, v25, 2.0, -v27
	v_fma_f32 v24, v24, 2.0, -v26
	ds_write2_b64 v28, v[24:25], v[26:27] offset0:56 offset1:69
.LBB0_9:
	s_or_b32 exec_lo, exec_lo, s0
	s_waitcnt lgkmcnt(0)
	s_barrier
	buffer_gl0_inv
	ds_read2_b64 v[25:28], v93 offset1:26
	ds_read2_b64 v[29:32], v93 offset0:52 offset1:78
	ds_read2_b64 v[33:36], v93 offset0:104 offset1:130
	v_add_nc_u32_e32 v24, 0x800, v93
	ds_read2_b64 v[37:40], v93 offset0:156 offset1:182
	ds_read2_b64 v[41:44], v93 offset0:208 offset1:234
	ds_read_b64 v[49:50], v93 offset:2496
	ds_read2_b64 v[45:48], v24 offset0:4 offset1:30
	s_mov_b32 s0, 0x7ab2bedd
	s_mov_b32 s1, 0x3f683c97
	s_mul_i32 s2, s9, 0xd0
	s_mul_hi_u32 s3, s8, 0xd0
	s_add_i32 s2, s3, s2
	s_mul_i32 s3, s8, 0xd0
	s_waitcnt lgkmcnt(6)
	v_mul_f32_e32 v51, v21, v28
	v_mul_f32_e32 v21, v21, v27
	s_waitcnt lgkmcnt(5)
	v_mul_f32_e32 v79, v23, v30
	v_mul_f32_e32 v23, v23, v29
	;; [unrolled: 1-line block ×4, first 2 shown]
	s_waitcnt lgkmcnt(4)
	v_mul_f32_e32 v82, v19, v34
	v_mul_f32_e32 v19, v19, v33
	v_fmac_f32_e32 v51, v20, v27
	v_fma_f32 v20, v20, v28, -v21
	v_mul_f32_e32 v17, v9, v36
	v_fmac_f32_e32 v79, v22, v29
	v_fma_f32 v21, v22, v30, -v23
	v_fmac_f32_e32 v80, v16, v31
	v_fma_f32 v22, v16, v32, -v81
	v_mul_f32_e32 v16, v9, v35
	v_fmac_f32_e32 v82, v18, v33
	v_fma_f32 v18, v18, v34, -v19
	s_waitcnt lgkmcnt(3)
	v_mul_f32_e32 v9, v11, v38
	v_mul_f32_e32 v11, v11, v37
	v_add_f32_e32 v19, v25, v51
	v_add_f32_e32 v23, v26, v20
	v_fmac_f32_e32 v17, v8, v35
	v_fmac_f32_e32 v9, v10, v37
	v_fma_f32 v10, v10, v38, -v11
	v_add_f32_e32 v11, v19, v79
	v_add_f32_e32 v19, v23, v21
	v_fma_f32 v16, v8, v36, -v16
	v_mul_f32_e32 v8, v1, v40
	v_mul_f32_e32 v1, v1, v39
	v_add_f32_e32 v27, v11, v80
	v_add_f32_e32 v19, v19, v22
	s_waitcnt lgkmcnt(2)
	v_mul_f32_e32 v23, v3, v42
	v_fmac_f32_e32 v8, v0, v39
	v_fma_f32 v11, v0, v40, -v1
	v_mul_f32_e32 v0, v3, v41
	v_add_f32_e32 v1, v27, v82
	v_add_f32_e32 v3, v19, v18
	v_fmac_f32_e32 v23, v2, v41
	v_mul_f32_e32 v19, v13, v44
	v_fma_f32 v2, v2, v42, -v0
	v_mul_f32_e32 v0, v13, v43
	v_add_f32_e32 v1, v1, v17
	v_add_f32_e32 v3, v3, v16
	v_fmac_f32_e32 v19, v12, v43
	s_waitcnt lgkmcnt(0)
	v_mul_f32_e32 v13, v15, v46
	v_fma_f32 v12, v12, v44, -v0
	v_add_f32_e32 v0, v1, v9
	v_add_f32_e32 v1, v3, v10
	v_mul_f32_e32 v3, v15, v45
	v_fmac_f32_e32 v13, v14, v45
	v_mul_f32_e32 v15, v5, v48
	v_add_f32_e32 v0, v0, v8
	v_add_f32_e32 v1, v1, v11
	v_fma_f32 v3, v14, v46, -v3
	v_mul_f32_e32 v14, v7, v49
	v_mul_f32_e32 v7, v7, v50
	v_add_f32_e32 v0, v0, v23
	v_add_f32_e32 v1, v1, v2
	v_mul_f32_e32 v5, v5, v47
	v_fma_f32 v14, v6, v50, -v14
	v_fmac_f32_e32 v7, v6, v49
	v_add_f32_e32 v0, v0, v19
	v_fmac_f32_e32 v15, v4, v47
	v_add_f32_e32 v1, v1, v12
	v_sub_f32_e32 v6, v20, v14
	v_fma_f32 v4, v4, v48, -v5
	v_add_f32_e32 v0, v0, v13
	v_add_f32_e32 v5, v51, v7
	v_add_f32_e32 v1, v1, v3
	v_mul_f32_e32 v27, 0xbeedf032, v6
	v_add_f32_e32 v20, v20, v14
	v_add_f32_e32 v0, v0, v15
	v_sub_f32_e32 v47, v21, v4
	v_add_f32_e32 v1, v1, v4
	v_fmamk_f32 v29, v5, 0x3f62ad3f, v27
	v_sub_f32_e32 v28, v51, v7
	v_mul_f32_e32 v30, 0x3f62ad3f, v20
	v_add_f32_e32 v0, v0, v7
	v_mul_f32_e32 v31, 0x3f116cb1, v20
	v_add_f32_e32 v7, v25, v29
	v_mul_f32_e32 v29, 0xbf52af12, v6
	v_mul_f32_e32 v34, 0xbf7e222b, v6
	;; [unrolled: 1-line block ×9, first 2 shown]
	v_add_f32_e32 v49, v79, v15
	v_mul_f32_e32 v50, 0xbf52af12, v47
	v_add_f32_e32 v4, v21, v4
	v_add_f32_e32 v1, v1, v14
	v_fmamk_f32 v14, v28, 0x3eedf032, v30
	v_fma_f32 v27, 0x3f62ad3f, v5, -v27
	v_fmac_f32_e32 v30, 0xbeedf032, v28
	v_fmamk_f32 v32, v5, 0x3f116cb1, v29
	v_fmamk_f32 v33, v28, 0x3f52af12, v31
	v_fma_f32 v29, 0x3f116cb1, v5, -v29
	v_fmac_f32_e32 v31, 0xbf52af12, v28
	v_fmamk_f32 v35, v5, 0x3df6dbef, v34
	;; [unrolled: 4-line block ×5, first 2 shown]
	v_fmamk_f32 v48, v28, 0x3e750f2a, v20
	v_fma_f32 v5, 0xbf788fa5, v5, -v6
	v_fmac_f32_e32 v20, 0xbe750f2a, v28
	v_sub_f32_e32 v6, v79, v15
	v_fmamk_f32 v15, v49, 0x3f116cb1, v50
	v_mul_f32_e32 v21, 0x3f116cb1, v4
	v_add_f32_e32 v14, v26, v14
	v_add_f32_e32 v27, v25, v27
	v_add_f32_e32 v30, v26, v30
	v_add_f32_e32 v32, v25, v32
	v_add_f32_e32 v33, v26, v33
	v_add_f32_e32 v29, v25, v29
	v_add_f32_e32 v31, v26, v31
	v_add_f32_e32 v35, v25, v35
	v_add_f32_e32 v38, v26, v38
	v_add_f32_e32 v34, v25, v34
	v_add_f32_e32 v36, v26, v36
	v_add_f32_e32 v39, v25, v39
	v_add_f32_e32 v41, v26, v41
	v_add_f32_e32 v37, v25, v37
	v_add_f32_e32 v40, v26, v40
	v_add_f32_e32 v44, v25, v44
	v_add_f32_e32 v45, v26, v45
	v_add_f32_e32 v42, v25, v42
	v_add_f32_e32 v43, v26, v43
	v_add_f32_e32 v46, v25, v46
	v_add_f32_e32 v28, v26, v48
	v_add_f32_e32 v5, v25, v5
	v_add_f32_e32 v20, v26, v20
	v_add_f32_e32 v7, v15, v7
	v_fmamk_f32 v15, v6, 0x3f52af12, v21
	v_mul_f32_e32 v25, 0xbf6f5d39, v47
	v_fma_f32 v26, 0x3f116cb1, v49, -v50
	v_fmac_f32_e32 v21, 0xbf52af12, v6
	v_mul_f32_e32 v48, 0xbeb58ec6, v4
	v_add_f32_e32 v14, v15, v14
	v_fmamk_f32 v15, v49, 0xbeb58ec6, v25
	v_add_f32_e32 v26, v26, v27
	v_add_f32_e32 v21, v21, v30
	v_fmamk_f32 v27, v6, 0x3f6f5d39, v48
	v_mul_f32_e32 v30, 0xbe750f2a, v47
	v_add_f32_e32 v15, v15, v32
	v_fma_f32 v25, 0xbeb58ec6, v49, -v25
	v_fmac_f32_e32 v48, 0xbf6f5d39, v6
	v_add_f32_e32 v27, v27, v33
	v_fmamk_f32 v32, v49, 0xbf788fa5, v30
	v_mul_f32_e32 v33, 0xbf788fa5, v4
	v_add_f32_e32 v25, v25, v29
	v_add_f32_e32 v29, v48, v31
	v_mul_f32_e32 v31, 0x3f29c268, v47
	v_add_f32_e32 v32, v32, v35
	v_fmamk_f32 v35, v6, 0x3e750f2a, v33
	v_fmac_f32_e32 v33, 0xbe750f2a, v6
	v_mul_f32_e32 v50, 0xbf3f9e67, v4
	v_fma_f32 v30, 0xbf788fa5, v49, -v30
	v_fmamk_f32 v48, v49, 0xbf3f9e67, v31
	v_add_f32_e32 v35, v35, v38
	v_add_f32_e32 v33, v33, v36
	v_fmamk_f32 v36, v6, 0xbf29c268, v50
	v_mul_f32_e32 v38, 0x3f7e222b, v47
	v_add_f32_e32 v30, v30, v34
	v_add_f32_e32 v34, v48, v39
	v_fma_f32 v31, 0xbf3f9e67, v49, -v31
	v_mul_f32_e32 v39, 0x3df6dbef, v4
	v_add_f32_e32 v36, v36, v41
	v_fmamk_f32 v41, v49, 0x3df6dbef, v38
	v_mul_f32_e32 v47, 0x3eedf032, v47
	v_fma_f32 v38, 0x3df6dbef, v49, -v38
	v_add_f32_e32 v31, v31, v37
	v_fmamk_f32 v37, v6, 0xbf7e222b, v39
	v_add_f32_e32 v41, v41, v44
	v_fmac_f32_e32 v39, 0x3f7e222b, v6
	v_fmamk_f32 v44, v49, 0x3f62ad3f, v47
	v_add_f32_e32 v38, v38, v42
	v_sub_f32_e32 v42, v22, v3
	v_add_f32_e32 v37, v37, v45
	v_mul_f32_e32 v4, 0x3f62ad3f, v4
	v_add_f32_e32 v39, v39, v43
	v_add_f32_e32 v43, v44, v46
	;; [unrolled: 1-line block ×3, first 2 shown]
	v_mul_f32_e32 v46, 0xbf7e222b, v42
	v_add_f32_e32 v3, v22, v3
	v_fmac_f32_e32 v50, 0x3f29c268, v6
	v_fmamk_f32 v44, v6, 0xbeedf032, v4
	v_fma_f32 v22, 0x3f62ad3f, v49, -v47
	v_fmac_f32_e32 v4, 0x3eedf032, v6
	v_sub_f32_e32 v6, v80, v13
	v_fmamk_f32 v13, v45, 0x3df6dbef, v46
	v_mul_f32_e32 v47, 0x3df6dbef, v3
	v_add_f32_e32 v28, v44, v28
	v_add_f32_e32 v4, v4, v20
	v_mul_f32_e32 v20, 0xbe750f2a, v42
	v_add_f32_e32 v7, v13, v7
	v_fmamk_f32 v13, v6, 0x3f7e222b, v47
	v_add_f32_e32 v5, v22, v5
	v_fma_f32 v22, 0x3df6dbef, v45, -v46
	v_mul_f32_e32 v44, 0xbf788fa5, v3
	v_mul_f32_e32 v46, 0x3f6f5d39, v42
	v_add_f32_e32 v13, v13, v14
	v_fmamk_f32 v14, v45, 0xbf788fa5, v20
	v_add_f32_e32 v22, v22, v26
	v_fmamk_f32 v26, v6, 0x3e750f2a, v44
	v_fmac_f32_e32 v44, 0xbe750f2a, v6
	v_fmac_f32_e32 v47, 0xbf7e222b, v6
	v_add_f32_e32 v14, v14, v15
	v_fma_f32 v15, 0xbf788fa5, v45, -v20
	v_add_f32_e32 v20, v26, v27
	v_fmamk_f32 v26, v45, 0xbeb58ec6, v46
	v_mul_f32_e32 v27, 0xbeb58ec6, v3
	v_add_f32_e32 v21, v47, v21
	v_add_f32_e32 v15, v15, v25
	;; [unrolled: 1-line block ×3, first 2 shown]
	v_mul_f32_e32 v29, 0x3eedf032, v42
	v_add_f32_e32 v26, v26, v32
	v_fmamk_f32 v32, v6, 0xbf6f5d39, v27
	v_fma_f32 v44, 0xbeb58ec6, v45, -v46
	v_fmac_f32_e32 v27, 0x3f6f5d39, v6
	v_fmamk_f32 v46, v45, 0x3f62ad3f, v29
	v_mul_f32_e32 v47, 0x3f62ad3f, v3
	v_add_f32_e32 v32, v32, v35
	v_add_f32_e32 v30, v44, v30
	;; [unrolled: 1-line block ×4, first 2 shown]
	v_fmamk_f32 v34, v6, 0xbeedf032, v47
	v_mul_f32_e32 v35, 0xbf52af12, v42
	v_fma_f32 v29, 0x3f62ad3f, v45, -v29
	v_mul_f32_e32 v44, 0x3f116cb1, v3
	v_mul_f32_e32 v42, 0xbf29c268, v42
	v_add_f32_e32 v34, v34, v36
	v_fmamk_f32 v36, v45, 0x3f116cb1, v35
	v_add_f32_e32 v29, v29, v31
	v_fmamk_f32 v31, v6, 0x3f52af12, v44
	v_fma_f32 v35, 0x3f116cb1, v45, -v35
	v_fmac_f32_e32 v44, 0xbf52af12, v6
	v_mul_f32_e32 v3, 0xbf3f9e67, v3
	v_fmac_f32_e32 v47, 0x3eedf032, v6
	v_add_f32_e32 v31, v31, v37
	v_fmamk_f32 v37, v45, 0xbf3f9e67, v42
	v_add_f32_e32 v35, v35, v38
	v_sub_f32_e32 v38, v18, v12
	v_add_f32_e32 v39, v44, v39
	v_add_f32_e32 v12, v18, v12
	;; [unrolled: 1-line block ×4, first 2 shown]
	v_mul_f32_e32 v44, 0xbf6f5d39, v38
	v_add_f32_e32 v36, v36, v41
	v_fmamk_f32 v41, v6, 0x3f29c268, v3
	v_fma_f32 v18, 0xbf3f9e67, v45, -v42
	v_fmac_f32_e32 v3, 0xbf29c268, v6
	v_sub_f32_e32 v6, v82, v19
	v_fmamk_f32 v19, v43, 0xbeb58ec6, v44
	v_mul_f32_e32 v42, 0xbeb58ec6, v12
	v_add_f32_e32 v5, v18, v5
	v_add_f32_e32 v3, v3, v4
	v_mul_f32_e32 v18, 0x3f29c268, v38
	v_add_f32_e32 v4, v19, v7
	v_fmamk_f32 v7, v6, 0x3f6f5d39, v42
	v_add_f32_e32 v28, v41, v28
	v_fma_f32 v19, 0xbeb58ec6, v43, -v44
	v_fmac_f32_e32 v42, 0xbf6f5d39, v6
	v_mul_f32_e32 v41, 0xbf3f9e67, v12
	v_add_f32_e32 v7, v7, v13
	v_fmamk_f32 v13, v43, 0xbf3f9e67, v18
	v_add_f32_e32 v19, v19, v22
	v_add_f32_e32 v21, v42, v21
	v_fmamk_f32 v22, v6, 0xbf29c268, v41
	v_mul_f32_e32 v42, 0x3eedf032, v38
	v_add_f32_e32 v13, v13, v14
	v_fma_f32 v14, 0xbf3f9e67, v43, -v18
	v_fmac_f32_e32 v41, 0x3f29c268, v6
	v_add_f32_e32 v18, v22, v20
	v_fmamk_f32 v20, v43, 0x3f62ad3f, v42
	v_mul_f32_e32 v22, 0x3f62ad3f, v12
	v_add_f32_e32 v14, v14, v15
	v_add_f32_e32 v15, v41, v25
	v_mul_f32_e32 v25, 0xbf7e222b, v38
	v_add_f32_e32 v20, v20, v26
	v_fmamk_f32 v26, v6, 0xbeedf032, v22
	v_fma_f32 v41, 0x3f62ad3f, v43, -v42
	v_fmac_f32_e32 v22, 0x3eedf032, v6
	v_fmamk_f32 v42, v43, 0x3df6dbef, v25
	v_mul_f32_e32 v44, 0x3df6dbef, v12
	v_add_f32_e32 v26, v26, v32
	v_add_f32_e32 v30, v41, v30
	;; [unrolled: 1-line block ×4, first 2 shown]
	v_fmamk_f32 v32, v6, 0x3f7e222b, v44
	v_mul_f32_e32 v33, 0x3e750f2a, v38
	v_fma_f32 v25, 0x3df6dbef, v43, -v25
	v_mul_f32_e32 v41, 0xbf788fa5, v12
	v_mul_f32_e32 v38, 0x3f52af12, v38
	v_add_f32_e32 v32, v32, v34
	v_fmamk_f32 v34, v43, 0xbf788fa5, v33
	v_add_f32_e32 v25, v25, v29
	v_fmamk_f32 v29, v6, 0xbe750f2a, v41
	v_fma_f32 v33, 0xbf788fa5, v43, -v33
	v_fmac_f32_e32 v41, 0x3e750f2a, v6
	v_mul_f32_e32 v12, 0x3f116cb1, v12
	v_fmac_f32_e32 v44, 0xbf7e222b, v6
	v_add_f32_e32 v29, v29, v31
	v_fmamk_f32 v31, v43, 0x3f116cb1, v38
	v_add_f32_e32 v33, v33, v35
	v_sub_f32_e32 v35, v16, v2
	v_add_f32_e32 v2, v16, v2
	v_add_f32_e32 v34, v34, v36
	;; [unrolled: 1-line block ×4, first 2 shown]
	v_fmamk_f32 v37, v6, 0xbf52af12, v12
	v_add_f32_e32 v39, v17, v23
	v_mul_f32_e32 v41, 0xbf29c268, v35
	v_fma_f32 v16, 0x3f116cb1, v43, -v38
	v_fmac_f32_e32 v12, 0x3f52af12, v6
	v_sub_f32_e32 v6, v17, v23
	v_mul_f32_e32 v23, 0xbf3f9e67, v2
	v_fmamk_f32 v17, v39, 0xbf3f9e67, v41
	v_add_f32_e32 v5, v16, v5
	v_add_f32_e32 v3, v12, v3
	v_mul_f32_e32 v16, 0x3f7e222b, v35
	v_fmamk_f32 v12, v6, 0x3f29c268, v23
	v_add_f32_e32 v28, v37, v28
	v_add_f32_e32 v4, v17, v4
	v_fma_f32 v17, 0xbf3f9e67, v39, -v41
	v_fmac_f32_e32 v23, 0xbf29c268, v6
	v_mul_f32_e32 v37, 0x3df6dbef, v2
	v_add_f32_e32 v7, v12, v7
	v_fmamk_f32 v12, v39, 0x3df6dbef, v16
	v_add_f32_e32 v17, v17, v19
	v_add_f32_e32 v19, v23, v21
	v_fmamk_f32 v21, v6, 0xbf7e222b, v37
	v_mul_f32_e32 v23, 0xbf52af12, v35
	v_add_f32_e32 v12, v12, v13
	v_fma_f32 v13, 0x3df6dbef, v39, -v16
	v_fmac_f32_e32 v37, 0x3f7e222b, v6
	v_add_f32_e32 v16, v21, v18
	v_fmamk_f32 v18, v39, 0x3f116cb1, v23
	v_mul_f32_e32 v21, 0x3f116cb1, v2
	v_add_f32_e32 v13, v13, v14
	v_add_f32_e32 v14, v37, v15
	v_mul_f32_e32 v15, 0x3e750f2a, v35
	v_add_f32_e32 v18, v18, v20
	v_fmamk_f32 v20, v6, 0x3f52af12, v21
	v_fmac_f32_e32 v21, 0xbf52af12, v6
	v_mul_f32_e32 v38, 0xbf788fa5, v2
	v_fmamk_f32 v37, v39, 0xbf788fa5, v15
	v_add_f32_e32 v40, v50, v40
	v_fma_f32 v23, 0x3f116cb1, v39, -v23
	v_add_f32_e32 v20, v20, v26
	v_add_f32_e32 v21, v21, v22
	;; [unrolled: 1-line block ×3, first 2 shown]
	v_fmamk_f32 v26, v6, 0xbe750f2a, v38
	v_mul_f32_e32 v27, 0x3eedf032, v35
	v_add_f32_e32 v40, v47, v40
	v_add_f32_e32 v23, v23, v30
	v_fma_f32 v15, 0xbf788fa5, v39, -v15
	v_mul_f32_e32 v30, 0x3f62ad3f, v2
	v_add_f32_e32 v26, v26, v32
	v_fmamk_f32 v32, v39, 0x3f62ad3f, v27
	v_fma_f32 v27, 0x3f62ad3f, v39, -v27
	v_add_f32_e32 v40, v44, v40
	v_fmac_f32_e32 v38, 0x3e750f2a, v6
	v_add_f32_e32 v25, v15, v25
	v_fmamk_f32 v15, v6, 0xbeedf032, v30
	v_mul_f32_e32 v35, 0xbf6f5d39, v35
	v_fmac_f32_e32 v30, 0x3eedf032, v6
	v_add_f32_e32 v27, v27, v33
	v_sub_f32_e32 v33, v10, v11
	v_add_f32_e32 v37, v38, v40
	v_add_f32_e32 v32, v32, v34
	;; [unrolled: 1-line block ×3, first 2 shown]
	v_fmamk_f32 v15, v39, 0xbeb58ec6, v35
	v_mul_f32_e32 v2, 0xbeb58ec6, v2
	v_add_f32_e32 v30, v30, v36
	v_add_f32_e32 v34, v9, v8
	v_mul_f32_e32 v36, 0xbe750f2a, v33
	v_add_f32_e32 v38, v10, v11
	v_add_f32_e32 v31, v15, v31
	v_fmamk_f32 v15, v6, 0x3f6f5d39, v2
	v_fma_f32 v10, 0xbeb58ec6, v39, -v35
	v_fmac_f32_e32 v2, 0xbf6f5d39, v6
	v_sub_f32_e32 v35, v9, v8
	v_fmamk_f32 v6, v34, 0xbf788fa5, v36
	v_mul_f32_e32 v8, 0xbf788fa5, v38
	v_mul_f32_e32 v9, 0x3eedf032, v33
	v_add_f32_e32 v39, v10, v5
	v_add_f32_e32 v40, v2, v3
	v_add_f32_e32 v2, v6, v4
	v_fmamk_f32 v3, v35, 0x3e750f2a, v8
	v_fmac_f32_e32 v8, 0xbe750f2a, v35
	v_mul_f32_e32 v10, 0x3f62ad3f, v38
	v_fmamk_f32 v6, v34, 0x3f62ad3f, v9
	v_mul_f32_e32 v11, 0xbf29c268, v33
	v_add_f32_e32 v28, v15, v28
	v_fma_f32 v4, 0xbf788fa5, v34, -v36
	v_add_f32_e32 v3, v3, v7
	v_add_f32_e32 v5, v8, v19
	v_fmamk_f32 v7, v35, 0xbeedf032, v10
	v_add_f32_e32 v6, v6, v12
	v_fma_f32 v8, 0x3f62ad3f, v34, -v9
	v_fmac_f32_e32 v10, 0x3eedf032, v35
	v_fmamk_f32 v12, v34, 0xbf3f9e67, v11
	v_mul_f32_e32 v15, 0xbf3f9e67, v38
	v_add_f32_e32 v4, v4, v17
	v_add_f32_e32 v7, v7, v16
	;; [unrolled: 1-line block ×4, first 2 shown]
	v_mul_f32_e32 v16, 0x3f52af12, v33
	v_add_f32_e32 v10, v12, v18
	v_fmamk_f32 v12, v35, 0x3f29c268, v15
	v_fma_f32 v13, 0xbf3f9e67, v34, -v11
	v_fmac_f32_e32 v15, 0xbf29c268, v35
	v_mul_f32_e32 v17, 0x3f116cb1, v38
	v_fmamk_f32 v14, v34, 0x3f116cb1, v16
	v_add_f32_e32 v11, v12, v20
	v_add_f32_e32 v12, v13, v23
	;; [unrolled: 1-line block ×3, first 2 shown]
	v_fmamk_f32 v15, v35, 0xbf52af12, v17
	v_mul_f32_e32 v18, 0xbf6f5d39, v33
	v_mul_f32_e32 v21, 0xbeb58ec6, v38
	v_add_f32_e32 v14, v14, v22
	v_fma_f32 v16, 0x3f116cb1, v34, -v16
	v_add_f32_e32 v15, v15, v26
	v_fmamk_f32 v19, v34, 0xbeb58ec6, v18
	v_fmamk_f32 v20, v35, 0x3f6f5d39, v21
	v_fma_f32 v22, 0xbeb58ec6, v34, -v18
	v_mul_f32_e32 v23, 0x3f7e222b, v33
	v_mul_f32_e32 v26, 0x3df6dbef, v38
	v_add_f32_e32 v16, v16, v25
	v_add_f32_e32 v18, v19, v32
	;; [unrolled: 1-line block ×4, first 2 shown]
	v_fmamk_f32 v22, v34, 0x3df6dbef, v23
	v_fmamk_f32 v25, v35, 0xbf7e222b, v26
	v_fma_f32 v27, 0x3df6dbef, v34, -v23
	v_fmac_f32_e32 v26, 0x3f7e222b, v35
	v_fmac_f32_e32 v17, 0x3f52af12, v35
	v_fmac_f32_e32 v21, 0xbf6f5d39, v35
	v_add_f32_e32 v22, v22, v31
	v_add_f32_e32 v23, v25, v28
	;; [unrolled: 1-line block ×6, first 2 shown]
	ds_write2_b64 v93, v[0:1], v[2:3] offset1:26
	ds_write2_b64 v93, v[6:7], v[10:11] offset0:52 offset1:78
	ds_write2_b64 v93, v[14:15], v[18:19] offset0:104 offset1:130
	;; [unrolled: 1-line block ×5, first 2 shown]
	ds_write_b64 v93, v[4:5] offset:2496
	s_waitcnt lgkmcnt(0)
	s_barrier
	buffer_gl0_inv
	ds_read2_b64 v[0:3], v93 offset1:26
	v_mad_u64_u32 v[10:11], null, s10, v66, 0
	v_mad_u64_u32 v[14:15], null, s8, v94, 0
	s_waitcnt lgkmcnt(0)
	v_mul_f32_e32 v4, v78, v1
	v_mul_f32_e32 v5, v78, v0
	;; [unrolled: 1-line block ×4, first 2 shown]
	v_fmac_f32_e32 v4, v77, v0
	v_fma_f32 v5, v77, v1, -v5
	v_fmac_f32_e32 v16, v73, v2
	v_fma_f32 v2, v73, v3, -v17
	v_cvt_f64_f32_e32 v[0:1], v4
	v_cvt_f64_f32_e32 v[8:9], v5
	ds_read2_b64 v[4:7], v93 offset0:52 offset1:78
	v_cvt_f64_f32_e32 v[18:19], v2
	v_cvt_f64_f32_e32 v[16:17], v16
	v_mul_f64 v[12:13], v[0:1], s[0:1]
	s_waitcnt lgkmcnt(0)
	v_mul_f32_e32 v20, v76, v5
	v_mul_f32_e32 v3, v76, v4
	v_mul_f64 v[8:9], v[8:9], s[0:1]
	v_mul_f32_e32 v23, v70, v6
	v_fmac_f32_e32 v20, v75, v4
	v_fma_f32 v2, v75, v5, -v3
	v_cvt_f64_f32_e32 v[4:5], v20
	v_mad_u64_u32 v[0:1], null, s11, v66, v[11:12]
	v_mov_b32_e32 v1, v15
	v_cvt_f32_f64_e32 v12, v[12:13]
	v_cvt_f32_f64_e32 v13, v[8:9]
	v_mad_u64_u32 v[20:21], null, s9, v94, v[1:2]
	v_cvt_f64_f32_e32 v[21:22], v2
	v_mov_b32_e32 v11, v0
	ds_read2_b64 v[0:3], v93 offset0:104 offset1:130
	v_lshlrev_b64 v[10:11], 3, v[10:11]
	v_mov_b32_e32 v15, v20
	v_mul_f32_e32 v20, v70, v7
	v_add_co_u32 v25, vcc_lo, s4, v10
	v_add_co_ci_u32_e32 v26, vcc_lo, s5, v11, vcc_lo
	v_lshlrev_b64 v[8:9], 3, v[14:15]
	v_mul_f64 v[10:11], v[16:17], s[0:1]
	v_mul_f64 v[14:15], v[18:19], s[0:1]
	;; [unrolled: 1-line block ×3, first 2 shown]
	v_fmac_f32_e32 v20, v69, v6
	v_fma_f32 v4, v69, v7, -v23
	v_mul_f64 v[18:19], v[21:22], s[0:1]
	s_waitcnt lgkmcnt(0)
	v_mul_f32_e32 v6, v72, v0
	v_mul_f32_e32 v5, v72, v1
	v_cvt_f64_f32_e32 v[20:21], v20
	v_cvt_f64_f32_e32 v[22:23], v4
	v_fma_f32 v4, v71, v1, -v6
	v_fmac_f32_e32 v5, v71, v0
	v_add_co_u32 v0, vcc_lo, v25, v8
	v_add_co_ci_u32_e32 v1, vcc_lo, v26, v9, vcc_lo
	v_cvt_f64_f32_e32 v[25:26], v4
	v_cvt_f64_f32_e32 v[8:9], v5
	ds_read2_b64 v[4:7], v93 offset0:156 offset1:182
	global_store_dwordx2 v[0:1], v[12:13], off
	v_add_co_u32 v0, vcc_lo, v0, s3
	v_cvt_f32_f64_e32 v10, v[10:11]
	v_cvt_f32_f64_e32 v11, v[14:15]
	;; [unrolled: 1-line block ×3, first 2 shown]
	v_add_co_ci_u32_e32 v1, vcc_lo, s2, v1, vcc_lo
	v_cvt_f32_f64_e32 v13, v[18:19]
	v_mul_f64 v[14:15], v[20:21], s[0:1]
	v_mul_f64 v[16:17], v[22:23], s[0:1]
	v_mul_f32_e32 v22, v65, v3
	v_add_co_u32 v20, vcc_lo, v0, s3
	v_add_co_ci_u32_e32 v21, vcc_lo, s2, v1, vcc_lo
	v_fmac_f32_e32 v22, v64, v2
	v_mul_f32_e32 v2, v65, v2
	v_mul_f64 v[18:19], v[25:26], s[0:1]
	s_waitcnt lgkmcnt(0)
	v_mul_f32_e32 v25, v68, v5
	v_mul_f32_e32 v26, v68, v4
	v_mul_f64 v[8:9], v[8:9], s[0:1]
	v_fma_f32 v2, v64, v3, -v2
	v_mul_f32_e32 v27, v59, v6
	v_fmac_f32_e32 v25, v67, v4
	v_fma_f32 v3, v67, v5, -v26
	global_store_dwordx2 v[0:1], v[10:11], off
	v_cvt_f64_f32_e32 v[4:5], v2
	v_fma_f32 v28, v58, v7, -v27
	global_store_dwordx2 v[20:21], v[12:13], off
	v_cvt_f64_f32_e32 v[12:13], v25
	v_cvt_f64_f32_e32 v[25:26], v3
	v_cvt_f32_f64_e32 v14, v[14:15]
	v_cvt_f32_f64_e32 v15, v[16:17]
	v_add_co_u32 v16, vcc_lo, v20, s3
	ds_read2_b64 v[0:3], v93 offset0:208 offset1:234
	v_cvt_f64_f32_e32 v[22:23], v22
	v_cvt_f64_f32_e32 v[28:29], v28
	v_add_co_ci_u32_e32 v17, vcc_lo, s2, v21, vcc_lo
	v_cvt_f32_f64_e32 v21, v[18:19]
	v_add_co_u32 v18, vcc_lo, v16, s3
	v_cvt_f32_f64_e32 v20, v[8:9]
	ds_read2_b64 v[8:11], v24 offset0:4 offset1:30
	v_mul_f32_e32 v24, v59, v7
	v_add_co_ci_u32_e32 v19, vcc_lo, s2, v17, vcc_lo
	v_mul_f64 v[4:5], v[4:5], s[0:1]
	v_fmac_f32_e32 v24, v58, v6
	v_mul_f64 v[6:7], v[12:13], s[0:1]
	v_mul_f64 v[12:13], v[25:26], s[0:1]
	ds_read_b64 v[26:27], v93 offset:2496
	global_store_dwordx2 v[16:17], v[14:15], off
	global_store_dwordx2 v[18:19], v[20:21], off
	s_waitcnt lgkmcnt(1)
	v_mul_f32_e32 v34, v57, v9
	v_mul_f32_e32 v30, v53, v1
	;; [unrolled: 1-line block ×5, first 2 shown]
	v_fmac_f32_e32 v34, v56, v8
	v_mul_f32_e32 v8, v57, v8
	v_mul_f32_e32 v36, v61, v11
	;; [unrolled: 1-line block ×3, first 2 shown]
	v_cvt_f64_f32_e32 v[24:25], v24
	v_fmac_f32_e32 v30, v52, v0
	v_fma_f32 v31, v52, v1, -v31
	s_waitcnt lgkmcnt(0)
	v_mul_f32_e32 v38, v63, v27
	v_mul_f32_e32 v39, v63, v26
	v_fmac_f32_e32 v32, v54, v2
	v_fma_f32 v33, v54, v3, -v33
	v_fma_f32 v8, v56, v9, -v8
	v_fmac_f32_e32 v36, v60, v10
	v_fma_f32 v37, v60, v11, -v37
	v_cvt_f64_f32_e32 v[0:1], v30
	v_cvt_f64_f32_e32 v[2:3], v31
	v_fmac_f32_e32 v38, v62, v26
	v_fma_f32 v39, v62, v27, -v39
	v_cvt_f64_f32_e32 v[30:31], v32
	v_cvt_f64_f32_e32 v[32:33], v33
	v_mul_f64 v[22:23], v[22:23], s[0:1]
	v_cvt_f64_f32_e32 v[34:35], v34
	v_cvt_f64_f32_e32 v[8:9], v8
	;; [unrolled: 1-line block ×6, first 2 shown]
	v_cvt_f32_f64_e32 v15, v[4:5]
	v_mul_f64 v[4:5], v[24:25], s[0:1]
	v_mul_f64 v[16:17], v[28:29], s[0:1]
	v_cvt_f32_f64_e32 v6, v[6:7]
	v_cvt_f32_f64_e32 v7, v[12:13]
	v_add_co_u32 v18, vcc_lo, v18, s3
	v_add_co_ci_u32_e32 v19, vcc_lo, s2, v19, vcc_lo
	v_mul_f64 v[0:1], v[0:1], s[0:1]
	v_mul_f64 v[2:3], v[2:3], s[0:1]
	;; [unrolled: 1-line block ×4, first 2 shown]
	v_cvt_f32_f64_e32 v14, v[22:23]
	v_mul_f64 v[22:23], v[34:35], s[0:1]
	v_mul_f64 v[8:9], v[8:9], s[0:1]
	v_mul_f64 v[10:11], v[10:11], s[0:1]
	v_mul_f64 v[24:25], v[26:27], s[0:1]
	v_mul_f64 v[26:27], v[36:37], s[0:1]
	v_mul_f64 v[28:29], v[38:39], s[0:1]
	v_add_co_u32 v30, vcc_lo, v18, s3
	v_add_co_ci_u32_e32 v31, vcc_lo, s2, v19, vcc_lo
	v_cvt_f32_f64_e32 v4, v[4:5]
	v_cvt_f32_f64_e32 v5, v[16:17]
	v_add_co_u32 v16, vcc_lo, v30, s3
	v_add_co_ci_u32_e32 v17, vcc_lo, s2, v31, vcc_lo
	v_cvt_f32_f64_e32 v0, v[0:1]
	v_cvt_f32_f64_e32 v1, v[2:3]
	;; [unrolled: 4-line block ×3, first 2 shown]
	v_cvt_f32_f64_e32 v20, v[22:23]
	v_cvt_f32_f64_e32 v21, v[8:9]
	;; [unrolled: 1-line block ×6, first 2 shown]
	v_add_co_u32 v22, vcc_lo, v2, s3
	v_add_co_ci_u32_e32 v23, vcc_lo, s2, v3, vcc_lo
	global_store_dwordx2 v[18:19], v[14:15], off
	v_add_co_u32 v14, vcc_lo, v22, s3
	v_add_co_ci_u32_e32 v15, vcc_lo, s2, v23, vcc_lo
	global_store_dwordx2 v[30:31], v[6:7], off
	;; [unrolled: 3-line block ×4, first 2 shown]
	global_store_dwordx2 v[22:23], v[12:13], off
	global_store_dwordx2 v[14:15], v[20:21], off
	;; [unrolled: 1-line block ×4, first 2 shown]
.LBB0_10:
	s_endpgm
	.section	.rodata,"a",@progbits
	.p2align	6, 0x0
	.amdhsa_kernel bluestein_single_back_len338_dim1_sp_op_CI_CI
		.amdhsa_group_segment_fixed_size 5408
		.amdhsa_private_segment_fixed_size 0
		.amdhsa_kernarg_size 104
		.amdhsa_user_sgpr_count 6
		.amdhsa_user_sgpr_private_segment_buffer 1
		.amdhsa_user_sgpr_dispatch_ptr 0
		.amdhsa_user_sgpr_queue_ptr 0
		.amdhsa_user_sgpr_kernarg_segment_ptr 1
		.amdhsa_user_sgpr_dispatch_id 0
		.amdhsa_user_sgpr_flat_scratch_init 0
		.amdhsa_user_sgpr_private_segment_size 0
		.amdhsa_wavefront_size32 1
		.amdhsa_uses_dynamic_stack 0
		.amdhsa_system_sgpr_private_segment_wavefront_offset 0
		.amdhsa_system_sgpr_workgroup_id_x 1
		.amdhsa_system_sgpr_workgroup_id_y 0
		.amdhsa_system_sgpr_workgroup_id_z 0
		.amdhsa_system_sgpr_workgroup_info 0
		.amdhsa_system_vgpr_workitem_id 0
		.amdhsa_next_free_vgpr 225
		.amdhsa_next_free_sgpr 20
		.amdhsa_reserve_vcc 1
		.amdhsa_reserve_flat_scratch 0
		.amdhsa_float_round_mode_32 0
		.amdhsa_float_round_mode_16_64 0
		.amdhsa_float_denorm_mode_32 3
		.amdhsa_float_denorm_mode_16_64 3
		.amdhsa_dx10_clamp 1
		.amdhsa_ieee_mode 1
		.amdhsa_fp16_overflow 0
		.amdhsa_workgroup_processor_mode 1
		.amdhsa_memory_ordered 1
		.amdhsa_forward_progress 0
		.amdhsa_shared_vgpr_count 0
		.amdhsa_exception_fp_ieee_invalid_op 0
		.amdhsa_exception_fp_denorm_src 0
		.amdhsa_exception_fp_ieee_div_zero 0
		.amdhsa_exception_fp_ieee_overflow 0
		.amdhsa_exception_fp_ieee_underflow 0
		.amdhsa_exception_fp_ieee_inexact 0
		.amdhsa_exception_int_div_zero 0
	.end_amdhsa_kernel
	.text
.Lfunc_end0:
	.size	bluestein_single_back_len338_dim1_sp_op_CI_CI, .Lfunc_end0-bluestein_single_back_len338_dim1_sp_op_CI_CI
                                        ; -- End function
	.section	.AMDGPU.csdata,"",@progbits
; Kernel info:
; codeLenInByte = 16468
; NumSgprs: 22
; NumVgprs: 225
; ScratchSize: 0
; MemoryBound: 0
; FloatMode: 240
; IeeeMode: 1
; LDSByteSize: 5408 bytes/workgroup (compile time only)
; SGPRBlocks: 2
; VGPRBlocks: 28
; NumSGPRsForWavesPerEU: 22
; NumVGPRsForWavesPerEU: 225
; Occupancy: 4
; WaveLimiterHint : 1
; COMPUTE_PGM_RSRC2:SCRATCH_EN: 0
; COMPUTE_PGM_RSRC2:USER_SGPR: 6
; COMPUTE_PGM_RSRC2:TRAP_HANDLER: 0
; COMPUTE_PGM_RSRC2:TGID_X_EN: 1
; COMPUTE_PGM_RSRC2:TGID_Y_EN: 0
; COMPUTE_PGM_RSRC2:TGID_Z_EN: 0
; COMPUTE_PGM_RSRC2:TIDIG_COMP_CNT: 0
	.text
	.p2alignl 6, 3214868480
	.fill 48, 4, 3214868480
	.type	__hip_cuid_a036baf4fea1946a,@object ; @__hip_cuid_a036baf4fea1946a
	.section	.bss,"aw",@nobits
	.globl	__hip_cuid_a036baf4fea1946a
__hip_cuid_a036baf4fea1946a:
	.byte	0                               ; 0x0
	.size	__hip_cuid_a036baf4fea1946a, 1

	.ident	"AMD clang version 19.0.0git (https://github.com/RadeonOpenCompute/llvm-project roc-6.4.0 25133 c7fe45cf4b819c5991fe208aaa96edf142730f1d)"
	.section	".note.GNU-stack","",@progbits
	.addrsig
	.addrsig_sym __hip_cuid_a036baf4fea1946a
	.amdgpu_metadata
---
amdhsa.kernels:
  - .args:
      - .actual_access:  read_only
        .address_space:  global
        .offset:         0
        .size:           8
        .value_kind:     global_buffer
      - .actual_access:  read_only
        .address_space:  global
        .offset:         8
        .size:           8
        .value_kind:     global_buffer
      - .actual_access:  read_only
        .address_space:  global
        .offset:         16
        .size:           8
        .value_kind:     global_buffer
      - .actual_access:  read_only
        .address_space:  global
        .offset:         24
        .size:           8
        .value_kind:     global_buffer
      - .actual_access:  read_only
        .address_space:  global
        .offset:         32
        .size:           8
        .value_kind:     global_buffer
      - .offset:         40
        .size:           8
        .value_kind:     by_value
      - .address_space:  global
        .offset:         48
        .size:           8
        .value_kind:     global_buffer
      - .address_space:  global
        .offset:         56
        .size:           8
        .value_kind:     global_buffer
      - .address_space:  global
        .offset:         64
        .size:           8
        .value_kind:     global_buffer
      - .address_space:  global
        .offset:         72
        .size:           8
        .value_kind:     global_buffer
      - .offset:         80
        .size:           4
        .value_kind:     by_value
      - .address_space:  global
        .offset:         88
        .size:           8
        .value_kind:     global_buffer
      - .address_space:  global
        .offset:         96
        .size:           8
        .value_kind:     global_buffer
    .group_segment_fixed_size: 5408
    .kernarg_segment_align: 8
    .kernarg_segment_size: 104
    .language:       OpenCL C
    .language_version:
      - 2
      - 0
    .max_flat_workgroup_size: 52
    .name:           bluestein_single_back_len338_dim1_sp_op_CI_CI
    .private_segment_fixed_size: 0
    .sgpr_count:     22
    .sgpr_spill_count: 0
    .symbol:         bluestein_single_back_len338_dim1_sp_op_CI_CI.kd
    .uniform_work_group_size: 1
    .uses_dynamic_stack: false
    .vgpr_count:     225
    .vgpr_spill_count: 0
    .wavefront_size: 32
    .workgroup_processor_mode: 1
amdhsa.target:   amdgcn-amd-amdhsa--gfx1030
amdhsa.version:
  - 1
  - 2
...

	.end_amdgpu_metadata
